;; amdgpu-corpus repo=ROCm/rocFFT kind=compiled arch=gfx1201 opt=O3
	.text
	.amdgcn_target "amdgcn-amd-amdhsa--gfx1201"
	.amdhsa_code_object_version 6
	.protected	fft_rtc_back_len1188_factors_6_11_2_3_3_wgs_198_tpt_66_halfLds_sp_ip_CI_sbrr_dirReg ; -- Begin function fft_rtc_back_len1188_factors_6_11_2_3_3_wgs_198_tpt_66_halfLds_sp_ip_CI_sbrr_dirReg
	.globl	fft_rtc_back_len1188_factors_6_11_2_3_3_wgs_198_tpt_66_halfLds_sp_ip_CI_sbrr_dirReg
	.p2align	8
	.type	fft_rtc_back_len1188_factors_6_11_2_3_3_wgs_198_tpt_66_halfLds_sp_ip_CI_sbrr_dirReg,@function
fft_rtc_back_len1188_factors_6_11_2_3_3_wgs_198_tpt_66_halfLds_sp_ip_CI_sbrr_dirReg: ; @fft_rtc_back_len1188_factors_6_11_2_3_3_wgs_198_tpt_66_halfLds_sp_ip_CI_sbrr_dirReg
; %bb.0:
	s_clause 0x1
	s_load_b64 s[12:13], s[0:1], 0x18
	s_load_b128 s[4:7], s[0:1], 0x0
	v_mul_u32_u24_e32 v1, 0x3e1, v0
	v_mov_b32_e32 v5, 0
	s_load_b64 s[10:11], s[0:1], 0x50
	s_wait_kmcnt 0x0
	s_load_b64 s[8:9], s[12:13], 0x0
	v_lshrrev_b32_e32 v1, 16, v1
	v_cmp_lt_u64_e64 s2, s[6:7], 2
	s_delay_alu instid0(VALU_DEP_2) | instskip(SKIP_4) | instid1(VALU_DEP_1)
	v_mad_co_u64_u32 v[1:2], null, ttmp9, 3, v[1:2]
	v_mov_b32_e32 v3, 0
	v_mov_b32_e32 v4, 0
	;; [unrolled: 1-line block ×3, first 2 shown]
	s_and_b32 vcc_lo, exec_lo, s2
	v_dual_mov_b32 v10, v2 :: v_dual_mov_b32 v9, v1
	s_cbranch_vccnz .LBB0_8
; %bb.1:
	s_load_b64 s[2:3], s[0:1], 0x10
	v_dual_mov_b32 v3, 0 :: v_dual_mov_b32 v8, v2
	v_dual_mov_b32 v4, 0 :: v_dual_mov_b32 v7, v1
	s_add_nc_u64 s[14:15], s[12:13], 8
	s_mov_b64 s[16:17], 1
	s_wait_kmcnt 0x0
	s_add_nc_u64 s[18:19], s[2:3], 8
	s_mov_b32 s3, 0
.LBB0_2:                                ; =>This Inner Loop Header: Depth=1
	s_load_b64 s[20:21], s[18:19], 0x0
                                        ; implicit-def: $vgpr9_vgpr10
	s_mov_b32 s2, exec_lo
	s_wait_kmcnt 0x0
	v_or_b32_e32 v6, s21, v8
	s_delay_alu instid0(VALU_DEP_1)
	v_cmpx_ne_u64_e32 0, v[5:6]
	s_wait_alu 0xfffe
	s_xor_b32 s22, exec_lo, s2
	s_cbranch_execz .LBB0_4
; %bb.3:                                ;   in Loop: Header=BB0_2 Depth=1
	s_cvt_f32_u32 s2, s20
	s_cvt_f32_u32 s23, s21
	s_sub_nc_u64 s[26:27], 0, s[20:21]
	s_wait_alu 0xfffe
	s_delay_alu instid0(SALU_CYCLE_1) | instskip(SKIP_1) | instid1(SALU_CYCLE_2)
	s_fmamk_f32 s2, s23, 0x4f800000, s2
	s_wait_alu 0xfffe
	v_s_rcp_f32 s2, s2
	s_delay_alu instid0(TRANS32_DEP_1) | instskip(SKIP_1) | instid1(SALU_CYCLE_2)
	s_mul_f32 s2, s2, 0x5f7ffffc
	s_wait_alu 0xfffe
	s_mul_f32 s23, s2, 0x2f800000
	s_wait_alu 0xfffe
	s_delay_alu instid0(SALU_CYCLE_2) | instskip(SKIP_1) | instid1(SALU_CYCLE_2)
	s_trunc_f32 s23, s23
	s_wait_alu 0xfffe
	s_fmamk_f32 s2, s23, 0xcf800000, s2
	s_cvt_u32_f32 s25, s23
	s_wait_alu 0xfffe
	s_delay_alu instid0(SALU_CYCLE_1) | instskip(SKIP_1) | instid1(SALU_CYCLE_2)
	s_cvt_u32_f32 s24, s2
	s_wait_alu 0xfffe
	s_mul_u64 s[28:29], s[26:27], s[24:25]
	s_wait_alu 0xfffe
	s_mul_hi_u32 s31, s24, s29
	s_mul_i32 s30, s24, s29
	s_mul_hi_u32 s2, s24, s28
	s_mul_i32 s33, s25, s28
	s_wait_alu 0xfffe
	s_add_nc_u64 s[30:31], s[2:3], s[30:31]
	s_mul_hi_u32 s23, s25, s28
	s_mul_hi_u32 s34, s25, s29
	s_add_co_u32 s2, s30, s33
	s_wait_alu 0xfffe
	s_add_co_ci_u32 s2, s31, s23
	s_mul_i32 s28, s25, s29
	s_add_co_ci_u32 s29, s34, 0
	s_wait_alu 0xfffe
	s_add_nc_u64 s[28:29], s[2:3], s[28:29]
	s_wait_alu 0xfffe
	v_add_co_u32 v2, s2, s24, s28
	s_delay_alu instid0(VALU_DEP_1) | instskip(SKIP_1) | instid1(VALU_DEP_1)
	s_cmp_lg_u32 s2, 0
	s_add_co_ci_u32 s25, s25, s29
	v_readfirstlane_b32 s24, v2
	s_wait_alu 0xfffe
	s_delay_alu instid0(VALU_DEP_1)
	s_mul_u64 s[26:27], s[26:27], s[24:25]
	s_wait_alu 0xfffe
	s_mul_hi_u32 s29, s24, s27
	s_mul_i32 s28, s24, s27
	s_mul_hi_u32 s2, s24, s26
	s_mul_i32 s30, s25, s26
	s_wait_alu 0xfffe
	s_add_nc_u64 s[28:29], s[2:3], s[28:29]
	s_mul_hi_u32 s23, s25, s26
	s_mul_hi_u32 s24, s25, s27
	s_wait_alu 0xfffe
	s_add_co_u32 s2, s28, s30
	s_add_co_ci_u32 s2, s29, s23
	s_mul_i32 s26, s25, s27
	s_add_co_ci_u32 s27, s24, 0
	s_wait_alu 0xfffe
	s_add_nc_u64 s[26:27], s[2:3], s[26:27]
	s_wait_alu 0xfffe
	v_add_co_u32 v2, s2, v2, s26
	s_delay_alu instid0(VALU_DEP_1) | instskip(SKIP_1) | instid1(VALU_DEP_1)
	s_cmp_lg_u32 s2, 0
	s_add_co_ci_u32 s2, s25, s27
	v_mul_hi_u32 v6, v7, v2
	s_wait_alu 0xfffe
	v_mad_co_u64_u32 v[9:10], null, v7, s2, 0
	v_mad_co_u64_u32 v[11:12], null, v8, v2, 0
	;; [unrolled: 1-line block ×3, first 2 shown]
	s_delay_alu instid0(VALU_DEP_3) | instskip(SKIP_1) | instid1(VALU_DEP_4)
	v_add_co_u32 v2, vcc_lo, v6, v9
	s_wait_alu 0xfffd
	v_add_co_ci_u32_e32 v6, vcc_lo, 0, v10, vcc_lo
	s_delay_alu instid0(VALU_DEP_2) | instskip(SKIP_1) | instid1(VALU_DEP_2)
	v_add_co_u32 v2, vcc_lo, v2, v11
	s_wait_alu 0xfffd
	v_add_co_ci_u32_e32 v2, vcc_lo, v6, v12, vcc_lo
	s_wait_alu 0xfffd
	v_add_co_ci_u32_e32 v6, vcc_lo, 0, v14, vcc_lo
	s_delay_alu instid0(VALU_DEP_2) | instskip(SKIP_1) | instid1(VALU_DEP_2)
	v_add_co_u32 v2, vcc_lo, v2, v13
	s_wait_alu 0xfffd
	v_add_co_ci_u32_e32 v6, vcc_lo, 0, v6, vcc_lo
	s_delay_alu instid0(VALU_DEP_2) | instskip(SKIP_1) | instid1(VALU_DEP_3)
	v_mul_lo_u32 v11, s21, v2
	v_mad_co_u64_u32 v[9:10], null, s20, v2, 0
	v_mul_lo_u32 v12, s20, v6
	s_delay_alu instid0(VALU_DEP_2) | instskip(NEXT) | instid1(VALU_DEP_2)
	v_sub_co_u32 v9, vcc_lo, v7, v9
	v_add3_u32 v10, v10, v12, v11
	s_delay_alu instid0(VALU_DEP_1) | instskip(SKIP_1) | instid1(VALU_DEP_1)
	v_sub_nc_u32_e32 v11, v8, v10
	s_wait_alu 0xfffd
	v_subrev_co_ci_u32_e64 v11, s2, s21, v11, vcc_lo
	v_add_co_u32 v12, s2, v2, 2
	s_wait_alu 0xf1ff
	v_add_co_ci_u32_e64 v13, s2, 0, v6, s2
	v_sub_co_u32 v14, s2, v9, s20
	v_sub_co_ci_u32_e32 v10, vcc_lo, v8, v10, vcc_lo
	s_wait_alu 0xf1ff
	v_subrev_co_ci_u32_e64 v11, s2, 0, v11, s2
	s_delay_alu instid0(VALU_DEP_3) | instskip(NEXT) | instid1(VALU_DEP_3)
	v_cmp_le_u32_e32 vcc_lo, s20, v14
	v_cmp_eq_u32_e64 s2, s21, v10
	s_wait_alu 0xfffd
	v_cndmask_b32_e64 v14, 0, -1, vcc_lo
	v_cmp_le_u32_e32 vcc_lo, s21, v11
	s_wait_alu 0xfffd
	v_cndmask_b32_e64 v15, 0, -1, vcc_lo
	v_cmp_le_u32_e32 vcc_lo, s20, v9
	;; [unrolled: 3-line block ×3, first 2 shown]
	s_wait_alu 0xfffd
	v_cndmask_b32_e64 v16, 0, -1, vcc_lo
	v_cmp_eq_u32_e32 vcc_lo, s21, v11
	s_wait_alu 0xf1ff
	s_delay_alu instid0(VALU_DEP_2)
	v_cndmask_b32_e64 v9, v16, v9, s2
	s_wait_alu 0xfffd
	v_cndmask_b32_e32 v11, v15, v14, vcc_lo
	v_add_co_u32 v14, vcc_lo, v2, 1
	s_wait_alu 0xfffd
	v_add_co_ci_u32_e32 v15, vcc_lo, 0, v6, vcc_lo
	s_delay_alu instid0(VALU_DEP_3) | instskip(SKIP_1) | instid1(VALU_DEP_2)
	v_cmp_ne_u32_e32 vcc_lo, 0, v11
	s_wait_alu 0xfffd
	v_dual_cndmask_b32 v10, v15, v13 :: v_dual_cndmask_b32 v11, v14, v12
	v_cmp_ne_u32_e32 vcc_lo, 0, v9
	s_wait_alu 0xfffd
	s_delay_alu instid0(VALU_DEP_2) | instskip(NEXT) | instid1(VALU_DEP_3)
	v_cndmask_b32_e32 v10, v6, v10, vcc_lo
	v_cndmask_b32_e32 v9, v2, v11, vcc_lo
.LBB0_4:                                ;   in Loop: Header=BB0_2 Depth=1
	s_wait_alu 0xfffe
	s_and_not1_saveexec_b32 s2, s22
	s_cbranch_execz .LBB0_6
; %bb.5:                                ;   in Loop: Header=BB0_2 Depth=1
	v_cvt_f32_u32_e32 v2, s20
	s_sub_co_i32 s22, 0, s20
	s_delay_alu instid0(VALU_DEP_1) | instskip(NEXT) | instid1(TRANS32_DEP_1)
	v_rcp_iflag_f32_e32 v2, v2
	v_mul_f32_e32 v2, 0x4f7ffffe, v2
	s_delay_alu instid0(VALU_DEP_1) | instskip(SKIP_1) | instid1(VALU_DEP_1)
	v_cvt_u32_f32_e32 v2, v2
	s_wait_alu 0xfffe
	v_mul_lo_u32 v6, s22, v2
	s_delay_alu instid0(VALU_DEP_1) | instskip(NEXT) | instid1(VALU_DEP_1)
	v_mul_hi_u32 v6, v2, v6
	v_add_nc_u32_e32 v2, v2, v6
	s_delay_alu instid0(VALU_DEP_1) | instskip(NEXT) | instid1(VALU_DEP_1)
	v_mul_hi_u32 v2, v7, v2
	v_mul_lo_u32 v6, v2, s20
	v_add_nc_u32_e32 v9, 1, v2
	s_delay_alu instid0(VALU_DEP_2) | instskip(NEXT) | instid1(VALU_DEP_1)
	v_sub_nc_u32_e32 v6, v7, v6
	v_subrev_nc_u32_e32 v10, s20, v6
	v_cmp_le_u32_e32 vcc_lo, s20, v6
	s_wait_alu 0xfffd
	s_delay_alu instid0(VALU_DEP_2) | instskip(SKIP_2) | instid1(VALU_DEP_3)
	v_cndmask_b32_e32 v6, v6, v10, vcc_lo
	v_mov_b32_e32 v10, v5
	v_cndmask_b32_e32 v2, v2, v9, vcc_lo
	v_cmp_le_u32_e32 vcc_lo, s20, v6
	s_delay_alu instid0(VALU_DEP_2) | instskip(SKIP_1) | instid1(VALU_DEP_1)
	v_add_nc_u32_e32 v9, 1, v2
	s_wait_alu 0xfffd
	v_cndmask_b32_e32 v9, v2, v9, vcc_lo
.LBB0_6:                                ;   in Loop: Header=BB0_2 Depth=1
	s_wait_alu 0xfffe
	s_or_b32 exec_lo, exec_lo, s2
	s_load_b64 s[22:23], s[14:15], 0x0
	v_mul_lo_u32 v2, v10, s20
	v_mul_lo_u32 v6, v9, s21
	v_mad_co_u64_u32 v[11:12], null, v9, s20, 0
	s_add_nc_u64 s[16:17], s[16:17], 1
	s_add_nc_u64 s[14:15], s[14:15], 8
	s_wait_alu 0xfffe
	v_cmp_ge_u64_e64 s2, s[16:17], s[6:7]
	s_add_nc_u64 s[18:19], s[18:19], 8
	s_delay_alu instid0(VALU_DEP_2) | instskip(NEXT) | instid1(VALU_DEP_3)
	v_add3_u32 v2, v12, v6, v2
	v_sub_co_u32 v6, vcc_lo, v7, v11
	s_wait_alu 0xfffd
	s_delay_alu instid0(VALU_DEP_2) | instskip(SKIP_3) | instid1(VALU_DEP_2)
	v_sub_co_ci_u32_e32 v2, vcc_lo, v8, v2, vcc_lo
	s_and_b32 vcc_lo, exec_lo, s2
	s_wait_kmcnt 0x0
	v_mul_lo_u32 v7, s23, v6
	v_mul_lo_u32 v2, s22, v2
	v_mad_co_u64_u32 v[3:4], null, s22, v6, v[3:4]
	s_delay_alu instid0(VALU_DEP_1)
	v_add3_u32 v4, v7, v4, v2
	s_wait_alu 0xfffe
	s_cbranch_vccnz .LBB0_8
; %bb.7:                                ;   in Loop: Header=BB0_2 Depth=1
	v_dual_mov_b32 v7, v9 :: v_dual_mov_b32 v8, v10
	s_branch .LBB0_2
.LBB0_8:
	s_lshl_b64 s[2:3], s[6:7], 3
	v_mul_hi_u32 v2, 0x3e0f83f, v0
	s_wait_alu 0xfffe
	s_add_nc_u64 s[2:3], s[12:13], s[2:3]
                                        ; implicit-def: $vgpr101
                                        ; implicit-def: $vgpr96
	s_load_b64 s[2:3], s[2:3], 0x0
	s_load_b64 s[0:1], s[0:1], 0x20
	s_delay_alu instid0(VALU_DEP_1) | instskip(NEXT) | instid1(VALU_DEP_1)
	v_mul_u32_u24_e32 v5, 0x42, v2
	v_sub_nc_u32_e32 v40, v0, v5
	s_delay_alu instid0(VALU_DEP_1)
	v_add_nc_u32_e32 v87, 0x42, v40
	v_add_nc_u32_e32 v88, 0x84, v40
	s_wait_kmcnt 0x0
	v_mul_lo_u32 v6, s2, v10
	v_mul_lo_u32 v7, s3, v9
	v_mad_co_u64_u32 v[2:3], null, s2, v9, v[3:4]
	v_cmp_gt_u64_e32 vcc_lo, s[0:1], v[9:10]
	v_cmp_le_u64_e64 s0, s[0:1], v[9:10]
	s_delay_alu instid0(VALU_DEP_3) | instskip(NEXT) | instid1(VALU_DEP_2)
	v_add3_u32 v3, v7, v3, v6
	s_and_saveexec_b32 s1, s0
	s_wait_alu 0xfffe
	s_xor_b32 s0, exec_lo, s1
; %bb.9:
	v_add_nc_u32_e32 v101, 0x42, v40
	v_add_nc_u32_e32 v96, 0x84, v40
; %bb.10:
	s_wait_alu 0xfffe
	s_or_saveexec_b32 s1, s0
	v_lshlrev_b64_e32 v[42:43], 3, v[2:3]
	v_add_nc_u32_e32 v89, 0xc6, v40
	v_add_nc_u32_e32 v92, 0x18c, v40
	;; [unrolled: 1-line block ×8, first 2 shown]
                                        ; implicit-def: $vgpr3
                                        ; implicit-def: $vgpr5
                                        ; implicit-def: $vgpr11
                                        ; implicit-def: $vgpr9
                                        ; implicit-def: $vgpr15
                                        ; implicit-def: $vgpr17
                                        ; implicit-def: $vgpr7
                                        ; implicit-def: $vgpr23
                                        ; implicit-def: $vgpr21
                                        ; implicit-def: $vgpr19
                                        ; implicit-def: $vgpr27
                                        ; implicit-def: $vgpr29
                                        ; implicit-def: $vgpr35
                                        ; implicit-def: $vgpr33
                                        ; implicit-def: $vgpr37
                                        ; implicit-def: $vgpr31
                                        ; implicit-def: $vgpr25
                                        ; implicit-def: $vgpr13
	s_wait_alu 0xfffe
	s_xor_b32 exec_lo, exec_lo, s1
	s_cbranch_execz .LBB0_12
; %bb.11:
	v_mad_co_u64_u32 v[2:3], null, s8, v40, 0
	v_mad_co_u64_u32 v[6:7], null, s8, v92, 0
	;; [unrolled: 1-line block ×4, first 2 shown]
	s_delay_alu instid0(VALU_DEP_4) | instskip(SKIP_3) | instid1(VALU_DEP_3)
	v_mov_b32_e32 v0, v3
	v_add_co_u32 v41, s0, s10, v42
	s_wait_alu 0xf1ff
	v_add_co_ci_u32_e64 v50, s0, s11, v43, s0
	v_mad_co_u64_u32 v[8:9], null, s9, v40, v[0:1]
	v_add_nc_u32_e32 v14, 0x252, v40
	v_dual_mov_b32 v0, v5 :: v_dual_mov_b32 v5, v7
	v_mad_co_u64_u32 v[18:19], null, s8, v90, 0
	v_mad_co_u64_u32 v[27:28], null, s8, v95, 0
	v_mov_b32_e32 v3, v8
	v_mad_co_u64_u32 v[9:10], null, s8, v14, 0
	v_mad_co_u64_u32 v[7:8], null, s9, v89, v[0:1]
	s_delay_alu instid0(VALU_DEP_3)
	v_lshlrev_b64_e32 v[2:3], 3, v[2:3]
	v_mad_co_u64_u32 v[35:36], null, s8, v99, 0
	v_mov_b32_e32 v96, v88
	v_mov_b32_e32 v0, v10
	v_mad_co_u64_u32 v[10:11], null, s9, v92, v[5:6]
	v_mov_b32_e32 v5, v7
	v_add_co_u32 v2, s0, v41, v2
	s_wait_alu 0xf1ff
	v_add_co_ci_u32_e64 v3, s0, v50, v3, s0
	s_delay_alu instid0(VALU_DEP_3) | instskip(SKIP_3) | instid1(VALU_DEP_3)
	v_lshlrev_b64_e32 v[4:5], 3, v[4:5]
	v_mov_b32_e32 v7, v10
	v_mad_co_u64_u32 v[14:15], null, s9, v14, v[0:1]
	v_dual_mov_b32 v0, v13 :: v_dual_add_nc_u32 v31, 0x294, v40
	v_lshlrev_b64_e32 v[6:7], 3, v[6:7]
	v_add_co_u32 v4, s0, v41, v4
	s_wait_alu 0xf1ff
	v_add_co_ci_u32_e64 v5, s0, v50, v5, s0
	v_mov_b32_e32 v10, v14
	s_delay_alu instid0(VALU_DEP_4) | instskip(SKIP_2) | instid1(VALU_DEP_3)
	v_add_co_u32 v6, s0, v41, v6
	s_wait_alu 0xf1ff
	v_add_co_ci_u32_e64 v7, s0, v50, v7, s0
	v_lshlrev_b64_e32 v[8:9], 3, v[9:10]
	v_mad_co_u64_u32 v[10:11], null, s9, v93, v[0:1]
	v_add_nc_u32_e32 v16, 0x3de, v40
	v_add_nc_u32_e32 v33, 0x420, v40
	v_mov_b32_e32 v101, v87
	v_add_co_u32 v8, s0, v41, v8
	s_wait_alu 0xf1ff
	v_add_co_ci_u32_e64 v9, s0, v50, v9, s0
	v_mov_b32_e32 v13, v10
	v_mad_co_u64_u32 v[14:15], null, s8, v16, 0
	s_clause 0x3
	global_load_b64 v[2:3], v[2:3], off
	global_load_b64 v[4:5], v[4:5], off
	;; [unrolled: 1-line block ×4, first 2 shown]
	v_mad_co_u64_u32 v[29:30], null, s8, v33, 0
	v_lshlrev_b64_e32 v[6:7], 3, v[12:13]
	v_mov_b32_e32 v12, v19
	v_mov_b32_e32 v0, v15
	s_delay_alu instid0(VALU_DEP_3) | instskip(NEXT) | instid1(VALU_DEP_2)
	v_add_co_u32 v6, s0, v41, v6
	v_mad_co_u64_u32 v[15:16], null, s9, v16, v[0:1]
	v_mad_co_u64_u32 v[16:17], null, s8, v87, 0
	s_wait_alu 0xf1ff
	v_add_co_ci_u32_e64 v7, s0, v50, v7, s0
	s_delay_alu instid0(VALU_DEP_3) | instskip(NEXT) | instid1(VALU_DEP_3)
	v_lshlrev_b64_e32 v[13:14], 3, v[14:15]
	v_mov_b32_e32 v0, v17
	s_delay_alu instid0(VALU_DEP_1) | instskip(NEXT) | instid1(VALU_DEP_3)
	v_mad_co_u64_u32 v[19:20], null, s9, v87, v[0:1]
	v_mad_co_u64_u32 v[20:21], null, s9, v90, v[12:13]
	;; [unrolled: 1-line block ×3, first 2 shown]
	v_add_co_u32 v12, s0, v41, v13
	s_delay_alu instid0(VALU_DEP_4) | instskip(SKIP_2) | instid1(VALU_DEP_4)
	v_mov_b32_e32 v17, v19
	s_wait_alu 0xf1ff
	v_add_co_ci_u32_e64 v13, s0, v50, v14, s0
	v_dual_mov_b32 v19, v20 :: v_dual_mov_b32 v0, v22
	s_delay_alu instid0(VALU_DEP_3) | instskip(NEXT) | instid1(VALU_DEP_2)
	v_lshlrev_b64_e32 v[14:15], 3, v[16:17]
	v_lshlrev_b64_e32 v[16:17], 3, v[18:19]
	s_delay_alu instid0(VALU_DEP_3) | instskip(SKIP_1) | instid1(VALU_DEP_4)
	v_mad_co_u64_u32 v[18:19], null, s9, v94, v[0:1]
	v_mad_co_u64_u32 v[19:20], null, s8, v31, 0
	v_add_co_u32 v23, s0, v41, v14
	s_wait_alu 0xf1ff
	v_add_co_ci_u32_e64 v24, s0, v50, v15, s0
	v_add_co_u32 v25, s0, v41, v16
	s_delay_alu instid0(VALU_DEP_4)
	v_mov_b32_e32 v0, v20
	s_wait_alu 0xf1ff
	v_add_co_ci_u32_e64 v26, s0, v50, v17, s0
	v_mov_b32_e32 v22, v18
	s_clause 0x3
	global_load_b64 v[14:15], v[6:7], off
	global_load_b64 v[16:17], v[12:13], off
	;; [unrolled: 1-line block ×4, first 2 shown]
	v_mad_co_u64_u32 v[31:32], null, s9, v31, v[0:1]
	v_mov_b32_e32 v0, v28
	v_mov_b32_e32 v18, v30
	v_lshlrev_b64_e32 v[21:22], 3, v[21:22]
	s_delay_alu instid0(VALU_DEP_3) | instskip(SKIP_3) | instid1(VALU_DEP_3)
	v_mad_co_u64_u32 v[23:24], null, s9, v95, v[0:1]
	v_mov_b32_e32 v20, v31
	v_mad_co_u64_u32 v[31:32], null, s8, v88, 0
	v_mad_co_u64_u32 v[24:25], null, s9, v33, v[18:19]
	v_lshlrev_b64_e32 v[18:19], 3, v[19:20]
	v_mov_b32_e32 v28, v23
	v_add_co_u32 v20, s0, v41, v21
	v_mov_b32_e32 v0, v32
	s_wait_alu 0xf1ff
	v_add_co_ci_u32_e64 v21, s0, v50, v22, s0
	v_lshlrev_b64_e32 v[22:23], 3, v[27:28]
	v_mov_b32_e32 v30, v24
	v_mad_co_u64_u32 v[26:27], null, s9, v88, v[0:1]
	v_mad_co_u64_u32 v[27:28], null, s8, v91, 0
	v_add_co_u32 v18, s0, v41, v18
	s_delay_alu instid0(VALU_DEP_4)
	v_lshlrev_b64_e32 v[24:25], 3, v[29:30]
	s_wait_alu 0xf1ff
	v_add_co_ci_u32_e64 v19, s0, v50, v19, s0
	v_mov_b32_e32 v32, v26
	v_mov_b32_e32 v0, v28
	v_add_nc_u32_e32 v26, 0x2d6, v40
	v_add_co_u32 v29, s0, v41, v22
	s_wait_alu 0xf1ff
	v_add_co_ci_u32_e64 v30, s0, v50, v23, s0
	v_mad_co_u64_u32 v[37:38], null, s9, v91, v[0:1]
	v_add_co_u32 v33, s0, v41, v24
	v_mad_co_u64_u32 v[38:39], null, s8, v26, 0
	s_wait_alu 0xf1ff
	v_add_co_ci_u32_e64 v34, s0, v50, v25, s0
	v_mov_b32_e32 v0, v36
	s_clause 0x3
	global_load_b64 v[22:23], v[20:21], off
	global_load_b64 v[24:25], v[18:19], off
	global_load_b64 v[20:21], v[29:30], off
	global_load_b64 v[18:19], v[33:34], off
	v_add_nc_u32_e32 v34, 0x39c, v40
	v_lshlrev_b64_e32 v[29:30], 3, v[31:32]
	v_mov_b32_e32 v28, v37
	v_mad_co_u64_u32 v[31:32], null, s9, v99, v[0:1]
	v_dual_mov_b32 v0, v39 :: v_dual_add_nc_u32 v37, 0x462, v40
	v_mad_co_u64_u32 v[32:33], null, s8, v34, 0
	v_add_co_u32 v29, s0, v41, v29
	s_delay_alu instid0(VALU_DEP_3) | instskip(NEXT) | instid1(VALU_DEP_4)
	v_mad_co_u64_u32 v[44:45], null, s9, v26, v[0:1]
	v_mad_co_u64_u32 v[45:46], null, s8, v37, 0
	s_delay_alu instid0(VALU_DEP_4)
	v_mov_b32_e32 v0, v33
	v_lshlrev_b64_e32 v[26:27], 3, v[27:28]
	v_mov_b32_e32 v36, v31
	s_wait_alu 0xf1ff
	v_add_co_ci_u32_e64 v30, s0, v50, v30, s0
	v_mad_co_u64_u32 v[33:34], null, s9, v34, v[0:1]
	v_mov_b32_e32 v0, v46
	v_add_co_u32 v47, s0, v41, v26
	s_wait_alu 0xf1ff
	v_add_co_ci_u32_e64 v48, s0, v50, v27, s0
	v_lshlrev_b64_e32 v[26:27], 3, v[35:36]
	v_mad_co_u64_u32 v[34:35], null, s9, v37, v[0:1]
	v_mov_b32_e32 v39, v44
	s_delay_alu instid0(VALU_DEP_3) | instskip(NEXT) | instid1(VALU_DEP_2)
	v_add_co_u32 v37, s0, v41, v26
	v_lshlrev_b64_e32 v[35:36], 3, v[38:39]
	s_delay_alu instid0(VALU_DEP_4) | instskip(SKIP_3) | instid1(VALU_DEP_4)
	v_mov_b32_e32 v46, v34
	s_wait_alu 0xf1ff
	v_add_co_ci_u32_e64 v38, s0, v50, v27, s0
	v_lshlrev_b64_e32 v[26:27], 3, v[32:33]
	v_add_co_u32 v31, s0, v41, v35
	v_lshlrev_b64_e32 v[33:34], 3, v[45:46]
	s_wait_alu 0xf1ff
	v_add_co_ci_u32_e64 v32, s0, v50, v36, s0
	s_delay_alu instid0(VALU_DEP_4)
	v_add_co_u32 v44, s0, v41, v26
	s_wait_alu 0xf1ff
	v_add_co_ci_u32_e64 v45, s0, v50, v27, s0
	v_add_co_u32 v49, s0, v41, v33
	s_wait_alu 0xf1ff
	v_add_co_ci_u32_e64 v50, s0, v50, v34, s0
	s_clause 0x5
	global_load_b64 v[26:27], v[29:30], off
	global_load_b64 v[28:29], v[47:48], off
	;; [unrolled: 1-line block ×6, first 2 shown]
.LBB0_12:
	s_or_b32 exec_lo, exec_lo, s1
	v_mul_hi_u32 v0, 0xaaaaaaab, v1
	s_wait_loadcnt 0xc
	v_dual_add_f32 v45, v9, v17 :: v_dual_add_f32 v46, v8, v16
	v_dual_add_f32 v38, v2, v10 :: v_dual_sub_f32 v41, v11, v15
	v_dual_add_f32 v39, v10, v14 :: v_dual_add_f32 v44, v4, v8
	s_delay_alu instid0(VALU_DEP_3) | instskip(SKIP_1) | instid1(VALU_DEP_3)
	v_dual_sub_f32 v47, v9, v17 :: v_dual_fmac_f32 v4, -0.5, v46
	v_lshrrev_b32_e32 v48, 1, v0
	v_dual_sub_f32 v49, v8, v16 :: v_dual_fmac_f32 v2, -0.5, v39
	v_fma_f32 v0, -0.5, v45, v5
	v_add_f32_e32 v45, v38, v14
	s_delay_alu instid0(VALU_DEP_4)
	v_lshl_add_u32 v46, v48, 1, v48
	v_add_f32_e32 v16, v44, v16
	s_wait_loadcnt 0x6
	v_add_f32_e32 v44, v19, v25
	v_fmamk_f32 v8, v49, 0x3f5db3d7, v0
	v_fmac_f32_e32 v0, 0xbf5db3d7, v49
	v_sub_nc_u32_e32 v1, v1, v46
	v_dual_fmamk_f32 v38, v47, 0xbf5db3d7, v4 :: v_dual_add_f32 v53, v45, v16
	s_delay_alu instid0(VALU_DEP_4)
	v_mul_f32_e32 v39, 0xbf5db3d7, v8
	v_fmac_f32_e32 v4, 0x3f5db3d7, v47
	v_dual_mul_f32 v46, 0xbf5db3d7, v0 :: v_dual_fmamk_f32 v47, v41, 0xbf5db3d7, v2
	v_fmac_f32_e32 v2, 0x3f5db3d7, v41
	v_mul_u32_u24_e32 v41, 0x4a4, v1
	v_add_f32_e32 v1, v6, v22
	v_add_f32_e32 v48, v22, v20
	;; [unrolled: 1-line block ×3, first 2 shown]
	v_dual_fmac_f32 v39, 0.5, v38 :: v_dual_fmac_f32 v46, -0.5, v4
	v_lshlrev_b32_e32 v100, 2, v41
	s_delay_alu instid0(VALU_DEP_4)
	v_fmac_f32_e32 v6, -0.5, v48
	v_sub_f32_e32 v56, v45, v16
	v_add_f32_e32 v45, v1, v20
	v_add_f32_e32 v16, v18, v24
	v_fma_f32 v1, -0.5, v44, v13
	v_sub_f32_e32 v44, v24, v18
	v_add_f32_e32 v18, v18, v49
	v_sub_f32_e32 v50, v25, v19
	v_sub_f32_e32 v57, v47, v39
	v_dual_add_f32 v54, v47, v39 :: v_dual_add_f32 v55, v2, v46
	s_delay_alu instid0(VALU_DEP_4) | instskip(SKIP_3) | instid1(VALU_DEP_3)
	v_dual_add_f32 v59, v45, v18 :: v_dual_fmac_f32 v12, -0.5, v16
	s_wait_loadcnt 0x1
	v_dual_fmamk_f32 v16, v44, 0x3f5db3d7, v1 :: v_dual_sub_f32 v47, v35, v37
	v_dual_fmac_f32 v1, 0xbf5db3d7, v44 :: v_dual_sub_f32 v44, v23, v21
	v_fmamk_f32 v24, v50, 0xbf5db3d7, v12
	v_dual_fmac_f32 v12, 0x3f5db3d7, v50 :: v_dual_add_nc_u32 v41, 0, v100
	s_delay_alu instid0(VALU_DEP_3)
	v_dual_mul_f32 v50, 0xbf5db3d7, v1 :: v_dual_fmamk_f32 v51, v44, 0xbf5db3d7, v6
	v_fmac_f32_e32 v6, 0x3f5db3d7, v44
	v_sub_f32_e32 v58, v2, v46
	s_wait_loadcnt 0x0
	v_add_f32_e32 v2, v33, v31
	v_dual_fmac_f32 v50, -0.5, v12 :: v_dual_add_f32 v39, v32, v30
	v_sub_f32_e32 v44, v32, v30
	v_sub_f32_e32 v62, v45, v18
	s_delay_alu instid0(VALU_DEP_4) | instskip(NEXT) | instid1(VALU_DEP_4)
	v_fma_f32 v2, -0.5, v2, v29
	v_add_f32_e32 v61, v6, v50
	v_sub_f32_e32 v46, v6, v50
	v_add_f32_e32 v6, v34, v36
	v_add_f32_e32 v18, v26, v34
	;; [unrolled: 1-line block ×3, first 2 shown]
	v_fmac_f32_e32 v28, -0.5, v39
	s_delay_alu instid0(VALU_DEP_4)
	v_dual_sub_f32 v39, v33, v31 :: v_dual_fmac_f32 v26, -0.5, v6
	v_fmamk_f32 v6, v44, 0x3f5db3d7, v2
	v_fmac_f32_e32 v2, 0xbf5db3d7, v44
	v_mul_f32_e32 v48, 0xbf5db3d7, v16
	v_add_f32_e32 v50, v18, v36
	v_fmamk_f32 v18, v39, 0xbf5db3d7, v28
	v_fmac_f32_e32 v28, 0x3f5db3d7, v39
	v_mul_f32_e32 v39, 0xbf5db3d7, v2
	v_add_f32_e32 v30, v32, v30
	v_mul_f32_e32 v44, 0xbf5db3d7, v6
	v_mul_u32_u24_e32 v32, 6, v40
	v_mul_i32_i24_e32 v63, 6, v96
	v_fmac_f32_e32 v39, -0.5, v28
	v_fmac_f32_e32 v48, 0.5, v24
	v_fmac_f32_e32 v44, 0.5, v18
	v_lshl_add_u32 v32, v32, 2, v41
	v_cmp_gt_u32_e64 s0, 42, v40
                                        ; implicit-def: $vgpr64
	s_delay_alu instid0(VALU_DEP_4)
	v_add_f32_e32 v60, v51, v48
	v_sub_f32_e32 v45, v51, v48
	v_fmamk_f32 v51, v47, 0xbf5db3d7, v26
	v_dual_fmac_f32 v26, 0x3f5db3d7, v47 :: v_dual_add_f32 v47, v50, v30
	v_sub_f32_e32 v50, v50, v30
	v_mul_i32_i24_e32 v30, 6, v101
	s_delay_alu instid0(VALU_DEP_3) | instskip(SKIP_1) | instid1(VALU_DEP_3)
	v_dual_add_f32 v48, v51, v44 :: v_dual_add_f32 v49, v26, v39
	v_dual_sub_f32 v52, v26, v39 :: v_dual_lshlrev_b32 v39, 2, v40
	v_lshl_add_u32 v30, v30, 2, v41
	v_lshl_add_u32 v26, v63, 2, v41
	v_sub_f32_e32 v51, v51, v44
	ds_store_2addr_b64 v32, v[53:54], v[55:56] offset1:1
	ds_store_b64 v32, v[57:58] offset:16
	v_add3_u32 v98, 0, v39, v100
	v_add_nc_u32_e32 v97, v41, v39
	v_lshlrev_b32_e32 v41, 2, v101
	s_delay_alu instid0(VALU_DEP_3)
	v_add_nc_u32_e32 v73, 0x800, v98
	v_add_nc_u32_e32 v39, 0x400, v98
	;; [unrolled: 1-line block ×4, first 2 shown]
	ds_store_2addr_b64 v30, v[59:60], v[61:62] offset1:1
	ds_store_b64 v30, v[45:46] offset:16
	ds_store_2addr_b64 v26, v[47:48], v[49:50] offset1:1
	ds_store_b64 v26, v[51:52] offset:16
	global_wb scope:SCOPE_SE
	s_wait_dscnt 0x0
	s_barrier_signal -1
	s_barrier_wait -1
	global_inv scope:SCOPE_SE
	ds_load_b32 v104, v97
	ds_load_2addr_b32 v[65:66], v98 offset0:108 offset1:216
	ds_load_2addr_b32 v[61:62], v39 offset0:68 offset1:176
	;; [unrolled: 1-line block ×5, first 2 shown]
                                        ; implicit-def: $vgpr60
	s_and_saveexec_b32 s1, s0
	s_cbranch_execz .LBB0_14
; %bb.13:
	v_add3_u32 v44, 0, v41, v100
	v_add_nc_u32_e32 v45, 0x200, v98
	v_add_nc_u32_e32 v59, 0xc00, v98
	;; [unrolled: 1-line block ×3, first 2 shown]
	ds_load_b32 v46, v44
	ds_load_2addr_b32 v[47:48], v45 offset0:46 offset1:154
	ds_load_2addr_b32 v[49:50], v39 offset0:134 offset1:242
	ds_load_2addr_b32 v[51:52], v73 offset0:94 offset1:202
	ds_load_2addr_b32 v[63:64], v59 offset0:54 offset1:162
	ds_load_2addr_b32 v[59:60], v60 offset0:14 offset1:122
.LBB0_14:
	s_wait_alu 0xfffe
	s_or_b32 exec_lo, exec_lo, s1
	v_dual_add_f32 v44, v11, v15 :: v_dual_add_f32 v5, v5, v9
	v_dual_add_f32 v11, v3, v11 :: v_dual_sub_f32 v10, v10, v14
	s_delay_alu instid0(VALU_DEP_2) | instskip(NEXT) | instid1(VALU_DEP_2)
	v_dual_mul_f32 v14, 0x3f5db3d7, v38 :: v_dual_fmac_f32 v3, -0.5, v44
	v_dual_mul_f32 v0, -0.5, v0 :: v_dual_add_f32 v9, v11, v15
	s_delay_alu instid0(VALU_DEP_2) | instskip(NEXT) | instid1(VALU_DEP_2)
	v_dual_add_f32 v11, v5, v17 :: v_dual_fmac_f32 v14, 0.5, v8
	v_dual_fmamk_f32 v15, v10, 0x3f5db3d7, v3 :: v_dual_fmac_f32 v0, 0x3f5db3d7, v4
	s_delay_alu instid0(VALU_DEP_2)
	v_dual_fmac_f32 v3, 0xbf5db3d7, v10 :: v_dual_add_f32 v4, v9, v11
	global_wb scope:SCOPE_SE
	s_wait_dscnt 0x0
	v_add_f32_e32 v5, v15, v14
	v_dual_sub_f32 v9, v9, v11 :: v_dual_add_f32 v8, v3, v0
	v_sub_f32_e32 v10, v15, v14
	v_sub_f32_e32 v11, v3, v0
	v_dual_add_f32 v0, v7, v23 :: v_dual_add_f32 v3, v25, v13
	v_dual_mul_f32 v14, 0x3f5db3d7, v24 :: v_dual_add_f32 v17, v23, v21
	s_delay_alu instid0(VALU_DEP_2) | instskip(NEXT) | instid1(VALU_DEP_3)
	v_dual_mul_f32 v2, -0.5, v2 :: v_dual_add_f32 v15, v0, v21
	v_add_f32_e32 v3, v19, v3
	v_sub_f32_e32 v13, v22, v20
	s_delay_alu instid0(VALU_DEP_4) | instskip(SKIP_3) | instid1(VALU_DEP_4)
	v_dual_fmac_f32 v14, 0.5, v16 :: v_dual_fmac_f32 v7, -0.5, v17
	v_dual_mul_f32 v17, -0.5, v1 :: v_dual_mul_f32 v18, 0x3f5db3d7, v18
	v_add_f32_e32 v16, v35, v37
	v_add_f32_e32 v20, v27, v35
	v_dual_add_f32 v0, v15, v3 :: v_dual_fmamk_f32 v19, v13, 0x3f5db3d7, v7
	s_delay_alu instid0(VALU_DEP_4) | instskip(SKIP_2) | instid1(VALU_DEP_4)
	v_dual_fmac_f32 v7, 0xbf5db3d7, v13 :: v_dual_fmac_f32 v18, 0.5, v6
	v_fmac_f32_e32 v17, 0x3f5db3d7, v12
	v_sub_f32_e32 v13, v15, v3
	v_dual_add_f32 v1, v19, v14 :: v_dual_fmac_f32 v2, 0x3f5db3d7, v28
	v_fmac_f32_e32 v27, -0.5, v16
	v_dual_sub_f32 v3, v34, v36 :: v_dual_add_f32 v16, v29, v33
	v_sub_f32_e32 v44, v19, v14
	v_add_f32_e32 v12, v7, v17
	s_delay_alu instid0(VALU_DEP_3)
	v_dual_add_f32 v15, v20, v37 :: v_dual_fmamk_f32 v20, v3, 0x3f5db3d7, v27
	v_fmac_f32_e32 v27, 0xbf5db3d7, v3
	v_add_f32_e32 v3, v16, v31
	v_sub_f32_e32 v45, v7, v17
	s_barrier_signal -1
	v_add_f32_e32 v72, v20, v18
	v_add_f32_e32 v69, v27, v2
	;; [unrolled: 1-line block ×3, first 2 shown]
	v_dual_sub_f32 v70, v15, v3 :: v_dual_sub_f32 v67, v20, v18
	v_sub_f32_e32 v68, v27, v2
	s_barrier_wait -1
	global_inv scope:SCOPE_SE
	ds_store_2addr_b64 v32, v[4:5], v[8:9] offset1:1
	ds_store_b64 v32, v[10:11] offset:16
	ds_store_2addr_b64 v30, v[0:1], v[12:13] offset1:1
	ds_store_b64 v30, v[44:45] offset:16
	;; [unrolled: 2-line block ×3, first 2 shown]
	global_wb scope:SCOPE_SE
	s_wait_dscnt 0x0
	s_barrier_signal -1
	s_barrier_wait -1
	global_inv scope:SCOPE_SE
	ds_load_b32 v44, v97
	ds_load_2addr_b32 v[85:86], v98 offset0:108 offset1:216
	ds_load_2addr_b32 v[79:80], v39 offset0:68 offset1:176
	;; [unrolled: 1-line block ×5, first 2 shown]
                                        ; implicit-def: $vgpr82
                                        ; implicit-def: $vgpr84
	s_and_saveexec_b32 s1, s0
	s_cbranch_execz .LBB0_16
; %bb.15:
	v_add3_u32 v0, 0, v41, v100
	v_add_nc_u32_e32 v1, 0x200, v98
	v_add_nc_u32_e32 v2, 0x400, v98
	;; [unrolled: 1-line block ×4, first 2 shown]
	ds_load_b32 v45, v0
	v_add_nc_u32_e32 v0, 0x1000, v98
	ds_load_2addr_b32 v[71:72], v1 offset0:46 offset1:154
	ds_load_2addr_b32 v[69:70], v2 offset0:134 offset1:242
	;; [unrolled: 1-line block ×5, first 2 shown]
.LBB0_16:
	s_wait_alu 0xfffe
	s_or_b32 exec_lo, exec_lo, s1
	v_and_b32_e32 v0, 0xff, v40
	s_delay_alu instid0(VALU_DEP_1) | instskip(NEXT) | instid1(VALU_DEP_1)
	v_mul_lo_u16 v0, 0xab, v0
	v_lshrrev_b16 v102, 10, v0
	s_delay_alu instid0(VALU_DEP_1) | instskip(NEXT) | instid1(VALU_DEP_1)
	v_mul_lo_u16 v0, v102, 6
	v_sub_nc_u16 v0, v40, v0
	s_delay_alu instid0(VALU_DEP_1) | instskip(NEXT) | instid1(VALU_DEP_1)
	v_and_b32_e32 v103, 0xff, v0
	v_mul_u32_u24_e32 v0, 10, v103
	s_delay_alu instid0(VALU_DEP_1)
	v_lshlrev_b32_e32 v0, 3, v0
	s_clause 0x1
	global_load_b128 v[36:39], v0, s[4:5]
	global_load_b128 v[32:35], v0, s[4:5] offset:16
	v_and_b32_e32 v1, 0xff, v101
	v_and_b32_e32 v102, 0xffff, v102
	s_wait_loadcnt_dscnt 0x3
	v_dual_mul_f32 v114, v66, v39 :: v_dual_mul_f32 v109, v79, v33
	s_delay_alu instid0(VALU_DEP_3) | instskip(NEXT) | instid1(VALU_DEP_3)
	v_mul_lo_u16 v1, 0xab, v1
	v_mad_u32_u24 v107, 0x108, v102, 0
	v_mul_f32_e32 v112, v85, v37
	v_dual_mul_f32 v115, v61, v33 :: v_dual_lshlrev_b32 v108, 2, v103
	s_delay_alu instid0(VALU_DEP_4)
	v_lshrrev_b16 v105, 10, v1
	v_mul_f32_e32 v37, v65, v37
	s_clause 0x1
	global_load_b128 v[24:27], v0, s[4:5] offset:32
	global_load_b128 v[16:19], v0, s[4:5] offset:48
	v_mul_f32_e32 v111, v86, v39
	v_mul_lo_u16 v1, v105, 6
	v_and_b32_e32 v103, 0xffff, v105
	v_add3_u32 v105, v107, v108, v100
	v_mul_f32_e32 v107, v80, v35
	v_mul_f32_e32 v116, v62, v35
	v_sub_nc_u16 v1, v101, v1
	v_fmac_f32_e32 v112, v65, v36
	s_delay_alu instid0(VALU_DEP_2) | instskip(NEXT) | instid1(VALU_DEP_1)
	v_and_b32_e32 v106, 0xff, v1
	v_mul_u32_u24_e32 v1, 10, v106
	v_lshlrev_b32_e32 v102, 2, v106
	s_delay_alu instid0(VALU_DEP_2)
	v_lshlrev_b32_e32 v1, 3, v1
	s_clause 0x5
	global_load_b128 v[20:23], v0, s[4:5] offset:64
	global_load_b128 v[28:31], v1, s[4:5]
	global_load_b128 v[12:15], v1, s[4:5] offset:16
	global_load_b128 v[8:11], v1, s[4:5] offset:32
	;; [unrolled: 1-line block ×4, first 2 shown]
	v_fmac_f32_e32 v111, v66, v38
	global_wb scope:SCOPE_SE
	s_wait_loadcnt_dscnt 0x0
	s_barrier_signal -1
	s_barrier_wait -1
	global_inv scope:SCOPE_SE
	v_mul_f32_e32 v106, v77, v25
	v_dual_mul_f32 v120, v56, v19 :: v_dual_mul_f32 v117, v57, v25
	v_mul_f32_e32 v25, v78, v27
	v_mul_f32_e32 v118, v58, v27
	;; [unrolled: 1-line block ×3, first 2 shown]
	v_dual_mul_f32 v119, v55, v17 :: v_dual_mul_f32 v110, v76, v19
	v_fmac_f32_e32 v106, v57, v24
	s_delay_alu instid0(VALU_DEP_2)
	v_dual_fmac_f32 v110, v56, v18 :: v_dual_mul_f32 v19, v73, v21
	v_dual_mul_f32 v121, v53, v21 :: v_dual_mul_f32 v122, v54, v23
	v_mul_f32_e32 v113, v74, v23
	v_dual_mul_f32 v39, v71, v29 :: v_dual_mul_f32 v124, v48, v31
	v_dual_mul_f32 v123, v47, v29 :: v_dual_mul_f32 v126, v50, v15
	v_mul_f32_e32 v35, v72, v31
	v_mul_f32_e32 v31, v69, v13
	v_mul_f32_e32 v27, v70, v15
	v_mul_f32_e32 v15, v67, v9
	v_mul_f32_e32 v65, v51, v9
	v_fma_f32 v23, v85, v36, -v37
	v_dual_mul_f32 v17, v68, v11 :: v_dual_fmac_f32 v108, v55, v16
	v_mul_f32_e32 v36, v52, v11
	v_fma_f32 v9, v79, v32, -v115
	v_fma_f32 v11, v76, v18, -v120
	v_dual_mul_f32 v125, v49, v13 :: v_dual_mul_f32 v66, v64, v7
	v_fma_f32 v21, v86, v38, -v114
	v_dual_mul_f32 v38, v81, v1 :: v_dual_mul_f32 v33, v84, v7
	v_fma_f32 v7, v75, v16, -v119
	v_fmac_f32_e32 v19, v53, v20
	v_fmac_f32_e32 v113, v54, v22
	v_fma_f32 v18, v73, v20, -v121
	v_mul_f32_e32 v29, v83, v5
	v_fmac_f32_e32 v17, v52, v10
	v_fma_f32 v16, v68, v10, -v36
	v_sub_f32_e32 v10, v9, v11
	v_fmac_f32_e32 v109, v61, v32
	v_mul_f32_e32 v37, v63, v5
	v_fma_f32 v5, v80, v34, -v116
	v_fma_f32 v13, v74, v22, -v122
	v_dual_fmac_f32 v107, v62, v34 :: v_dual_mul_f32 v62, v59, v1
	v_mul_f32_e32 v61, v82, v3
	v_fmac_f32_e32 v25, v58, v26
	v_fma_f32 v1, v77, v24, -v117
	v_dual_fmac_f32 v39, v47, v28 :: v_dual_sub_f32 v20, v5, v7
	v_fma_f32 v53, v71, v28, -v123
	v_fmac_f32_e32 v35, v48, v30
	v_fma_f32 v47, v72, v30, -v124
	v_fmac_f32_e32 v27, v50, v14
	;; [unrolled: 2-line block ×3, first 2 shown]
	v_fma_f32 v14, v67, v8, -v65
	v_fma_f32 v34, v84, v6, -v66
	v_dual_fmac_f32 v38, v59, v0 :: v_dual_fmac_f32 v33, v64, v6
	v_mul_f32_e32 v64, 0xbf0a6770, v20
	v_dual_sub_f32 v6, v21, v18 :: v_dual_fmac_f32 v29, v63, v4
	v_add_f32_e32 v8, v109, v110
	v_fma_f32 v30, v83, v4, -v37
	v_add_f32_e32 v4, v111, v19
	s_delay_alu instid0(VALU_DEP_4)
	v_dual_mul_f32 v52, 0xbf68dda4, v6 :: v_dual_mul_f32 v79, v60, v3
	v_add_f32_e32 v24, v106, v25
	v_fma_f32 v3, v78, v26, -v118
	v_fmac_f32_e32 v61, v60, v2
	v_fma_f32 v32, v69, v12, -v125
	v_fma_f32 v36, v82, v2, -v79
	v_dual_sub_f32 v2, v23, v13 :: v_dual_fmac_f32 v31, v49, v12
	v_fma_f32 v37, v81, v0, -v62
	v_add_f32_e32 v0, v112, v113
	v_add_f32_e32 v12, v107, v108
	s_delay_alu instid0(VALU_DEP_4) | instskip(SKIP_4) | instid1(VALU_DEP_4)
	v_mul_f32_e32 v50, 0xbf7d64f0, v2
	v_sub_f32_e32 v22, v1, v3
	v_dual_add_f32 v26, v104, v112 :: v_dual_mul_f32 v49, 0xbf68dda4, v2
	v_mul_f32_e32 v65, 0xbe903f40, v20
	v_mul_f32_e32 v48, 0xbf0a6770, v2
	;; [unrolled: 1-line block ×3, first 2 shown]
	s_delay_alu instid0(VALU_DEP_4)
	v_dual_add_f32 v26, v26, v111 :: v_dual_mul_f32 v51, 0xbf4178ce, v2
	v_fmamk_f32 v71, v0, 0x3ed4b147, v49
	v_fma_f32 v49, 0x3ed4b147, v0, -v49
	v_mul_f32_e32 v54, 0xbf4178ce, v6
	v_fmamk_f32 v85, v12, 0xbf75a155, v65
	v_fma_f32 v65, 0xbf75a155, v12, -v65
	v_fmamk_f32 v72, v0, 0xbe11bafb, v50
	v_fma_f32 v50, 0xbe11bafb, v0, -v50
	v_dual_mul_f32 v56, 0x3f7d64f0, v6 :: v_dual_mul_f32 v63, 0x3f7d64f0, v20
	v_dual_add_f32 v49, v104, v49 :: v_dual_mul_f32 v2, 0xbe903f40, v2
	s_delay_alu instid0(VALU_DEP_3)
	v_add_f32_e32 v50, v104, v50
	v_fmamk_f32 v75, v4, 0xbf27a4f4, v54
	v_fmamk_f32 v73, v0, 0xbf27a4f4, v51
	v_mul_f32_e32 v59, 0x3f68dda4, v10
	v_fma_f32 v51, 0xbf27a4f4, v0, -v51
	v_mul_f32_e32 v57, 0xbf7d64f0, v10
	v_mul_f32_e32 v58, 0x3e903f40, v10
	v_fma_f32 v54, 0xbf27a4f4, v4, -v54
	v_mul_f32_e32 v60, 0xbf0a6770, v10
	v_fmamk_f32 v77, v4, 0xbe11bafb, v56
	v_fma_f32 v56, 0xbe11bafb, v4, -v56
	v_fmamk_f32 v80, v8, 0x3ed4b147, v59
	v_fma_f32 v59, 0x3ed4b147, v8, -v59
	;; [unrolled: 2-line block ×3, first 2 shown]
	v_mul_f32_e32 v55, 0x3e903f40, v6
	v_dual_mul_f32 v6, 0x3f0a6770, v6 :: v_dual_add_f32 v51, v104, v51
	v_mul_f32_e32 v10, 0xbf4178ce, v10
	v_mul_f32_e32 v62, 0xbf4178ce, v20
	v_dual_mul_f32 v20, 0x3f68dda4, v20 :: v_dual_mul_f32 v69, 0x3f68dda4, v22
	v_fmamk_f32 v74, v0, 0xbf75a155, v2
	v_fma_f32 v0, 0xbf75a155, v0, -v2
	v_mul_f32_e32 v67, 0x3f0a6770, v22
	v_fmamk_f32 v2, v4, 0x3ed4b147, v52
	v_fma_f32 v52, 0x3ed4b147, v4, -v52
	v_fmamk_f32 v78, v4, 0x3f575c64, v6
	v_add_f32_e32 v0, v104, v0
	v_mul_f32_e32 v68, 0xbf4178ce, v22
	v_add_f32_e32 v48, v104, v48
	v_fmamk_f32 v76, v4, 0xbf75a155, v55
	v_fma_f32 v55, 0xbf75a155, v4, -v55
	v_fma_f32 v4, 0x3f575c64, v4, -v6
	v_fmamk_f32 v6, v8, 0xbe11bafb, v57
	v_fma_f32 v57, 0xbe11bafb, v8, -v57
	v_add_f32_e32 v49, v54, v49
	v_fmamk_f32 v81, v8, 0x3f575c64, v60
	v_fma_f32 v60, 0x3f575c64, v8, -v60
	v_dual_add_f32 v51, v56, v51 :: v_dual_mul_f32 v22, 0xbf7d64f0, v22
	v_fmamk_f32 v79, v8, 0xbf75a155, v58
	v_fma_f32 v58, 0xbf75a155, v8, -v58
	v_fmamk_f32 v82, v8, 0xbf27a4f4, v10
	v_fma_f32 v8, 0xbf27a4f4, v8, -v10
	v_fmamk_f32 v10, v12, 0xbf27a4f4, v62
	v_fma_f32 v62, 0xbf27a4f4, v12, -v62
	v_fmamk_f32 v83, v12, 0xbe11bafb, v63
	v_fma_f32 v63, 0xbe11bafb, v12, -v63
	v_fmamk_f32 v84, v12, 0x3f575c64, v64
	v_fma_f32 v64, 0x3f575c64, v12, -v64
	v_fmamk_f32 v86, v12, 0x3ed4b147, v20
	v_fma_f32 v12, 0x3ed4b147, v12, -v20
	v_fmamk_f32 v20, v24, 0xbf75a155, v66
	v_fma_f32 v66, 0xbf75a155, v24, -v66
	v_fmamk_f32 v114, v24, 0x3f575c64, v67
	v_fma_f32 v67, 0x3f575c64, v24, -v67
	v_fmamk_f32 v115, v24, 0xbf27a4f4, v68
	v_fma_f32 v68, 0xbf27a4f4, v24, -v68
	v_fmamk_f32 v116, v24, 0x3ed4b147, v69
	v_fma_f32 v69, 0x3ed4b147, v24, -v69
	v_add_f32_e32 v51, v60, v51
	v_fmamk_f32 v117, v24, 0xbe11bafb, v22
	v_fma_f32 v22, 0xbe11bafb, v24, -v22
	v_add_f32_e32 v24, v26, v109
	v_add_f32_e32 v26, v104, v70
	;; [unrolled: 1-line block ×4, first 2 shown]
	s_delay_alu instid0(VALU_DEP_4) | instskip(NEXT) | instid1(VALU_DEP_4)
	v_add_f32_e32 v24, v24, v107
	v_add_f32_e32 v2, v2, v26
	;; [unrolled: 1-line block ×8, first 2 shown]
	v_dual_add_f32 v26, v58, v49 :: v_dual_add_f32 v49, v59, v50
	v_add_f32_e32 v48, v75, v70
	s_delay_alu instid0(VALU_DEP_4) | instskip(SKIP_1) | instid1(VALU_DEP_4)
	v_add_f32_e32 v2, v10, v2
	v_add_f32_e32 v4, v24, v25
	;; [unrolled: 1-line block ×3, first 2 shown]
	v_dual_add_f32 v26, v64, v49 :: v_dual_add_f32 v49, v65, v51
	v_add_f32_e32 v71, v104, v72
	v_add_f32_e32 v72, v104, v73
	;; [unrolled: 1-line block ×7, first 2 shown]
	v_dual_add_f32 v24, v79, v48 :: v_dual_add_f32 v73, v104, v74
	v_add_f32_e32 v4, v4, v110
	s_delay_alu instid0(VALU_DEP_4) | instskip(NEXT) | instid1(VALU_DEP_4)
	v_add_f32_e32 v48, v80, v52
	v_add_f32_e32 v50, v81, v54
	s_delay_alu instid0(VALU_DEP_4) | instskip(NEXT) | instid1(VALU_DEP_4)
	v_dual_add_f32 v8, v83, v24 :: v_dual_add_f32 v55, v78, v73
	v_add_f32_e32 v4, v4, v19
	s_delay_alu instid0(VALU_DEP_4) | instskip(NEXT) | instid1(VALU_DEP_4)
	v_add_f32_e32 v24, v84, v48
	v_add_f32_e32 v48, v85, v50
	s_delay_alu instid0(VALU_DEP_4)
	v_add_f32_e32 v8, v114, v8
	v_add_f32_e32 v52, v82, v55
	v_add_f32_e32 v2, v20, v2
	v_add_f32_e32 v12, v115, v24
	v_add_f32_e32 v20, v116, v48
	v_add_f32_e32 v24, v69, v49
	v_add_f32_e32 v50, v86, v52
	v_add_f32_e32 v0, v22, v0
	v_add_f32_e32 v10, v67, v10
	v_add_f32_e32 v22, v68, v26
	v_add_f32_e32 v4, v4, v113
	v_add_f32_e32 v48, v117, v50
	v_add_f32_e32 v6, v66, v6
	ds_store_2addr_b32 v105, v8, v12 offset0:12 offset1:18
	ds_store_2addr_b32 v105, v20, v48 offset0:24 offset1:30
	ds_store_2addr_b32 v105, v0, v24 offset0:36 offset1:42
	ds_store_2addr_b32 v105, v22, v10 offset0:48 offset1:54
	ds_store_2addr_b32 v105, v4, v2 offset1:6
	ds_store_b32 v105, v6 offset:240
	s_and_saveexec_b32 s1, s0
	s_cbranch_execz .LBB0_18
; %bb.17:
	v_dual_add_f32 v2, v39, v61 :: v_dual_sub_f32 v49, v14, v16
	v_sub_f32_e32 v6, v47, v37
	v_sub_f32_e32 v0, v53, v36
	v_add_f32_e32 v4, v35, v38
	v_sub_f32_e32 v22, v28, v30
	v_add_f32_e32 v8, v31, v33
	v_mul_f32_e32 v24, 0x3f0a6770, v6
	v_mul_f32_e32 v10, 0xbe903f40, v0
	;; [unrolled: 1-line block ×5, first 2 shown]
	v_fma_f32 v51, 0x3f575c64, v4, -v24
	v_fma_f32 v26, 0xbf75a155, v2, -v10
	v_fmac_f32_e32 v10, 0xbf75a155, v2
	s_delay_alu instid0(VALU_DEP_2) | instskip(NEXT) | instid1(VALU_DEP_1)
	v_dual_mul_f32 v63, 0x3f0a6770, v49 :: v_dual_add_f32 v26, v46, v26
	v_add_f32_e32 v26, v51, v26
	v_mul_f32_e32 v51, 0x3f7d64f0, v6
	v_dual_mul_f32 v55, 0xbf4178ce, v0 :: v_dual_sub_f32 v12, v32, v34
	v_fmac_f32_e32 v24, 0x3f575c64, v4
	v_add_f32_e32 v10, v46, v10
	s_delay_alu instid0(VALU_DEP_3) | instskip(NEXT) | instid1(VALU_DEP_4)
	v_fma_f32 v58, 0xbf27a4f4, v2, -v55
	v_mul_f32_e32 v50, 0xbf4178ce, v12
	v_dual_fmac_f32 v55, 0xbf27a4f4, v2 :: v_dual_add_f32 v20, v27, v29
	s_delay_alu instid0(VALU_DEP_4) | instskip(NEXT) | instid1(VALU_DEP_4)
	v_add_f32_e32 v10, v24, v10
	v_add_f32_e32 v58, v46, v58
	s_delay_alu instid0(VALU_DEP_4) | instskip(SKIP_3) | instid1(VALU_DEP_4)
	v_fma_f32 v56, 0xbf27a4f4, v8, -v50
	v_fmac_f32_e32 v50, 0xbf27a4f4, v8
	v_fma_f32 v57, 0x3ed4b147, v20, -v52
	v_fmac_f32_e32 v52, 0x3ed4b147, v20
	v_add_f32_e32 v26, v56, v26
	s_delay_alu instid0(VALU_DEP_4) | instskip(NEXT) | instid1(VALU_DEP_2)
	v_add_f32_e32 v10, v50, v10
	v_add_f32_e32 v26, v57, v26
	v_fma_f32 v57, 0xbe11bafb, v4, -v51
	s_delay_alu instid0(VALU_DEP_3) | instskip(SKIP_2) | instid1(VALU_DEP_4)
	v_add_f32_e32 v10, v52, v10
	v_dual_add_f32 v52, v46, v55 :: v_dual_fmac_f32 v51, 0xbe11bafb, v4
	v_mul_f32_e32 v24, 0xbf0a6770, v12
	v_add_f32_e32 v50, v57, v58
	v_mul_f32_e32 v62, 0x3e903f40, v12
	s_delay_alu instid0(VALU_DEP_4) | instskip(SKIP_1) | instid1(VALU_DEP_1)
	v_add_f32_e32 v51, v51, v52
	v_dual_mul_f32 v57, 0xbe903f40, v22 :: v_dual_add_f32 v48, v15, v17
	v_fma_f32 v56, 0xbe11bafb, v48, -v54
	s_delay_alu instid0(VALU_DEP_1) | instskip(SKIP_2) | instid1(VALU_DEP_2)
	v_add_f32_e32 v26, v56, v26
	v_fma_f32 v56, 0x3f575c64, v8, -v24
	v_fmac_f32_e32 v24, 0x3f575c64, v8
	v_add_f32_e32 v50, v56, v50
	v_mul_f32_e32 v56, 0x3f68dda4, v49
	s_delay_alu instid0(VALU_DEP_3)
	v_dual_add_f32 v24, v24, v51 :: v_dual_mul_f32 v51, 0x3e903f40, v6
	v_fma_f32 v55, 0xbf75a155, v20, -v57
	v_fmac_f32_e32 v57, 0xbf75a155, v20
	v_fmac_f32_e32 v54, 0xbe11bafb, v48
	v_fma_f32 v52, 0x3ed4b147, v48, -v56
	v_fmac_f32_e32 v56, 0x3ed4b147, v48
	v_add_f32_e32 v50, v55, v50
	v_add_f32_e32 v24, v57, v24
	;; [unrolled: 1-line block ×3, first 2 shown]
	v_mul_f32_e32 v54, 0xbf7d64f0, v0
	v_fma_f32 v55, 0xbf75a155, v4, -v51
	v_dual_add_f32 v50, v52, v50 :: v_dual_mul_f32 v57, 0x3f68dda4, v12
	v_fmac_f32_e32 v51, 0xbf75a155, v4
	s_delay_alu instid0(VALU_DEP_4)
	v_fma_f32 v52, 0xbe11bafb, v2, -v54
	v_fmac_f32_e32 v54, 0xbe11bafb, v2
	v_add_f32_e32 v24, v56, v24
	v_mul_f32_e32 v56, 0xbf0a6770, v22
	v_fma_f32 v58, 0x3ed4b147, v8, -v57
	v_add_f32_e32 v52, v46, v52
	v_dual_add_f32 v54, v46, v54 :: v_dual_fmac_f32 v57, 0x3ed4b147, v8
	v_fma_f32 v60, 0xbf27a4f4, v48, -v59
	v_fmac_f32_e32 v59, 0xbf27a4f4, v48
	s_delay_alu instid0(VALU_DEP_4) | instskip(NEXT) | instid1(VALU_DEP_4)
	v_add_f32_e32 v52, v55, v52
	v_add_f32_e32 v51, v51, v54
	v_fma_f32 v54, 0x3f575c64, v20, -v56
	v_mul_f32_e32 v55, 0xbf68dda4, v0
	v_fmac_f32_e32 v56, 0x3f575c64, v20
	s_delay_alu instid0(VALU_DEP_4) | instskip(SKIP_1) | instid1(VALU_DEP_4)
	v_dual_add_f32 v52, v58, v52 :: v_dual_add_f32 v51, v57, v51
	v_mul_f32_e32 v58, 0xbf4178ce, v6
	v_fma_f32 v57, 0x3ed4b147, v2, -v55
	v_fmac_f32_e32 v55, 0x3ed4b147, v2
	s_delay_alu instid0(VALU_DEP_4) | instskip(SKIP_1) | instid1(VALU_DEP_4)
	v_dual_mul_f32 v0, 0xbf0a6770, v0 :: v_dual_add_f32 v51, v56, v51
	v_mul_f32_e32 v6, 0xbf68dda4, v6
	v_add_f32_e32 v56, v46, v57
	v_fma_f32 v57, 0xbf27a4f4, v4, -v58
	v_add_f32_e32 v55, v46, v55
	v_dual_add_f32 v51, v59, v51 :: v_dual_fmac_f32 v58, 0xbf27a4f4, v4
	v_dual_add_f32 v59, v46, v39 :: v_dual_mul_f32 v12, 0xbf7d64f0, v12
	v_add_f32_e32 v52, v54, v52
	s_delay_alu instid0(VALU_DEP_3) | instskip(NEXT) | instid1(VALU_DEP_3)
	v_dual_add_f32 v54, v57, v56 :: v_dual_add_f32 v55, v58, v55
	v_add_f32_e32 v58, v59, v35
	v_fma_f32 v59, 0x3f575c64, v2, -v0
	v_fmac_f32_e32 v0, 0x3f575c64, v2
	v_mul_f32_e32 v57, 0x3f7d64f0, v22
	v_mul_f32_e32 v22, 0xbf4178ce, v22
	v_add_f32_e32 v58, v58, v31
	v_fma_f32 v56, 0xbf75a155, v8, -v62
	v_add_f32_e32 v0, v46, v0
	v_fmac_f32_e32 v62, 0xbf75a155, v8
	s_delay_alu instid0(VALU_DEP_4)
	v_add_f32_e32 v2, v58, v27
	v_fma_f32 v58, 0x3ed4b147, v4, -v6
	v_fmac_f32_e32 v6, 0x3ed4b147, v4
	v_add_f32_e32 v4, v46, v59
	v_fma_f32 v46, 0xbe11bafb, v8, -v12
	v_add_f32_e32 v2, v2, v15
	v_fmac_f32_e32 v12, 0xbe11bafb, v8
	v_add_f32_e32 v0, v6, v0
	v_add_f32_e32 v4, v58, v4
	v_fma_f32 v6, 0xbf27a4f4, v20, -v22
	v_add_f32_e32 v2, v2, v17
	v_mul_f32_e32 v8, 0xbe903f40, v49
	v_add_f32_e32 v0, v12, v0
	v_fmac_f32_e32 v22, 0xbf27a4f4, v20
	v_add_f32_e32 v54, v56, v54
	v_add_f32_e32 v2, v2, v29
	v_fma_f32 v56, 0xbe11bafb, v20, -v57
	v_add_f32_e32 v55, v62, v55
	v_fmac_f32_e32 v57, 0xbe11bafb, v20
	v_add_f32_e32 v4, v46, v4
	v_add_f32_e32 v2, v2, v33
	v_fma_f32 v20, 0xbf75a155, v48, -v8
	v_add_f32_e32 v0, v22, v0
	v_fmac_f32_e32 v8, 0xbf75a155, v48
	v_mad_u32_u24 v22, 0x108, v103, 0
	v_add_f32_e32 v2, v2, v38
	v_add_f32_e32 v54, v56, v54
	v_fma_f32 v56, 0x3f575c64, v48, -v63
	v_dual_fmac_f32 v63, 0x3f575c64, v48 :: v_dual_add_f32 v12, v57, v55
	v_add_f32_e32 v4, v6, v4
	v_add_f32_e32 v0, v8, v0
	;; [unrolled: 1-line block ×3, first 2 shown]
	v_add3_u32 v6, v22, v102, v100
	v_add_f32_e32 v8, v63, v12
	v_add_f32_e32 v12, v60, v52
	;; [unrolled: 1-line block ×4, first 2 shown]
	ds_store_2addr_b32 v6, v2, v0 offset1:6
	ds_store_2addr_b32 v6, v8, v51 offset0:12 offset1:18
	ds_store_2addr_b32 v6, v24, v10 offset0:24 offset1:30
	;; [unrolled: 1-line block ×4, first 2 shown]
	ds_store_b32 v6, v4 offset:240
.LBB0_18:
	s_wait_alu 0xfffe
	s_or_b32 exec_lo, exec_lo, s1
	v_add_f32_e32 v6, v21, v18
	v_add_f32_e32 v2, v23, v13
	;; [unrolled: 1-line block ×3, first 2 shown]
	v_sub_f32_e32 v4, v112, v113
	global_wb scope:SCOPE_SE
	s_wait_dscnt 0x0
	v_dual_mul_f32 v23, 0xbf75a155, v6 :: v_dual_sub_f32 v8, v111, v19
	v_dual_mul_f32 v19, 0xbe11bafb, v2 :: v_dual_add_f32 v0, v0, v21
	s_barrier_signal -1
	s_barrier_wait -1
	global_inv scope:SCOPE_SE
	v_fmamk_f32 v46, v4, 0x3f7d64f0, v19
	v_fmac_f32_e32 v19, 0xbf7d64f0, v4
	v_mul_f32_e32 v21, 0x3ed4b147, v6
	v_mul_f32_e32 v10, 0x3f575c64, v2
	v_dual_mul_f32 v12, 0x3ed4b147, v2 :: v_dual_sub_f32 v55, v106, v25
	s_delay_alu instid0(VALU_DEP_4) | instskip(SKIP_1) | instid1(VALU_DEP_3)
	v_dual_add_f32 v19, v44, v19 :: v_dual_mul_f32 v20, 0xbf27a4f4, v2
	v_mul_f32_e32 v2, 0xbf75a155, v2
	v_fmamk_f32 v26, v4, 0x3f68dda4, v12
	v_fmamk_f32 v24, v4, 0x3f0a6770, v10
	v_fmac_f32_e32 v10, 0xbf0a6770, v4
	v_fmamk_f32 v48, v4, 0x3f4178ce, v20
	v_fmac_f32_e32 v12, 0xbf68dda4, v4
	v_fmac_f32_e32 v20, 0xbf4178ce, v4
	v_fmamk_f32 v49, v4, 0x3e903f40, v2
	v_fmac_f32_e32 v2, 0xbe903f40, v4
	v_add_f32_e32 v48, v44, v48
	v_mul_f32_e32 v22, 0xbf27a4f4, v6
	v_fmamk_f32 v4, v8, 0x3f68dda4, v21
	v_dual_fmac_f32 v21, 0xbf68dda4, v8 :: v_dual_add_f32 v26, v44, v26
	v_add_f32_e32 v12, v44, v12
	s_delay_alu instid0(VALU_DEP_4) | instskip(SKIP_2) | instid1(VALU_DEP_2)
	v_fmamk_f32 v50, v8, 0x3f4178ce, v22
	v_dual_add_f32 v0, v0, v9 :: v_dual_add_f32 v9, v9, v11
	v_add_f32_e32 v10, v44, v10
	v_dual_add_f32 v0, v0, v5 :: v_dual_add_nc_u32 v25, 0xe00, v98
	v_dual_add_f32 v5, v5, v7 :: v_dual_add_f32 v2, v44, v2
	s_delay_alu instid0(VALU_DEP_2) | instskip(NEXT) | instid1(VALU_DEP_1)
	v_dual_add_f32 v0, v0, v1 :: v_dual_add_f32 v1, v1, v3
	v_add_f32_e32 v0, v0, v3
	s_delay_alu instid0(VALU_DEP_2) | instskip(SKIP_2) | instid1(VALU_DEP_4)
	v_mul_f32_e32 v58, 0xbf27a4f4, v1
	v_mul_f32_e32 v65, 0x3ed4b147, v1
	;; [unrolled: 1-line block ×3, first 2 shown]
	v_dual_add_f32 v0, v0, v7 :: v_dual_mul_f32 v7, 0xbf27a4f4, v9
	s_delay_alu instid0(VALU_DEP_2) | instskip(SKIP_1) | instid1(VALU_DEP_3)
	v_fmamk_f32 v67, v55, 0x3f7d64f0, v66
	v_fmac_f32_e32 v66, 0xbf7d64f0, v55
	v_add_f32_e32 v0, v0, v11
	s_delay_alu instid0(VALU_DEP_1) | instskip(SKIP_2) | instid1(VALU_DEP_3)
	v_add_f32_e32 v0, v0, v18
	v_add_f32_e32 v18, v44, v20
	;; [unrolled: 1-line block ×3, first 2 shown]
	v_dual_add_f32 v51, v0, v13 :: v_dual_add_f32 v0, v21, v10
	v_mul_f32_e32 v21, 0xbe11bafb, v6
	v_mul_f32_e32 v6, 0x3f575c64, v6
	v_fmamk_f32 v10, v8, 0xbe903f40, v23
	v_fmac_f32_e32 v23, 0x3e903f40, v8
	v_add_f32_e32 v13, v50, v26
	v_fmamk_f32 v11, v8, 0xbf7d64f0, v21
	v_fmac_f32_e32 v21, 0x3f7d64f0, v8
	s_delay_alu instid0(VALU_DEP_4) | instskip(SKIP_1) | instid1(VALU_DEP_4)
	v_dual_add_f32 v19, v23, v19 :: v_dual_add_nc_u32 v26, 0x400, v98
	v_sub_f32_e32 v23, v109, v110
	v_add_f32_e32 v11, v11, v48
	v_fmac_f32_e32 v22, 0xbf4178ce, v8
	s_delay_alu instid0(VALU_DEP_1) | instskip(SKIP_4) | instid1(VALU_DEP_4)
	v_add_f32_e32 v12, v22, v12
	v_fmamk_f32 v22, v8, 0xbf0a6770, v6
	v_fmac_f32_e32 v6, 0x3f0a6770, v8
	v_dual_add_f32 v8, v21, v18 :: v_dual_mul_f32 v21, 0xbf75a155, v9
	v_add_f32_e32 v24, v44, v24
	v_add_f32_e32 v18, v22, v20
	s_delay_alu instid0(VALU_DEP_4) | instskip(SKIP_1) | instid1(VALU_DEP_1)
	v_add_f32_e32 v2, v6, v2
	v_mul_f32_e32 v6, 0x3ed4b147, v9
	v_fmamk_f32 v22, v23, 0xbf68dda4, v6
	v_fmac_f32_e32 v6, 0x3f68dda4, v23
	s_delay_alu instid0(VALU_DEP_1) | instskip(SKIP_3) | instid1(VALU_DEP_2)
	v_dual_add_f32 v6, v6, v19 :: v_dual_sub_f32 v19, v107, v108
	v_add_f32_e32 v4, v4, v24
	v_mul_f32_e32 v24, 0xbe11bafb, v9
	v_add_f32_e32 v46, v44, v46
	v_fmamk_f32 v20, v23, 0x3f7d64f0, v24
	s_delay_alu instid0(VALU_DEP_2) | instskip(SKIP_1) | instid1(VALU_DEP_3)
	v_add_f32_e32 v10, v10, v46
	v_fmac_f32_e32 v24, 0xbf7d64f0, v23
	v_add_f32_e32 v4, v20, v4
	v_fmamk_f32 v20, v23, 0xbe903f40, v21
	s_delay_alu instid0(VALU_DEP_4) | instskip(SKIP_2) | instid1(VALU_DEP_4)
	v_dual_fmac_f32 v21, 0x3e903f40, v23 :: v_dual_add_f32 v10, v22, v10
	v_fmamk_f32 v22, v23, 0x3f4178ce, v7
	v_fmac_f32_e32 v7, 0xbf4178ce, v23
	v_add_f32_e32 v13, v20, v13
	v_mul_f32_e32 v20, 0x3f575c64, v9
	v_dual_add_f32 v12, v21, v12 :: v_dual_mul_f32 v21, 0xbf27a4f4, v5
	s_delay_alu instid0(VALU_DEP_4) | instskip(NEXT) | instid1(VALU_DEP_3)
	v_dual_add_f32 v2, v7, v2 :: v_dual_mul_f32 v7, 0x3f575c64, v5
	v_dual_fmamk_f32 v9, v23, 0x3f0a6770, v20 :: v_dual_add_f32 v0, v24, v0
	v_fmac_f32_e32 v20, 0xbf0a6770, v23
	v_add_f32_e32 v18, v22, v18
	s_delay_alu instid0(VALU_DEP_3)
	v_dual_fmamk_f32 v22, v19, 0x3f0a6770, v7 :: v_dual_add_f32 v9, v9, v11
	v_fmamk_f32 v11, v19, 0x3f4178ce, v21
	v_fmac_f32_e32 v21, 0xbf4178ce, v19
	v_fmac_f32_e32 v7, 0xbf0a6770, v19
	v_add_nc_u32_e32 v23, 0x200, v98
	v_add_nc_u32_e32 v24, 0xc00, v98
	v_add_f32_e32 v4, v11, v4
	v_dual_add_f32 v0, v21, v0 :: v_dual_mul_f32 v21, 0xbf75a155, v5
	v_add_f32_e32 v50, v7, v6
	v_dual_fmamk_f32 v7, v55, 0x3f4178ce, v58 :: v_dual_add_f32 v8, v20, v8
	v_mul_f32_e32 v20, 0xbe11bafb, v5
	v_mul_f32_e32 v5, 0x3ed4b147, v5
	;; [unrolled: 1-line block ×3, first 2 shown]
	v_fmac_f32_e32 v58, 0xbf4178ce, v55
	s_delay_alu instid0(VALU_DEP_4) | instskip(NEXT) | instid1(VALU_DEP_4)
	v_fmamk_f32 v11, v19, 0xbf7d64f0, v20
	v_fmamk_f32 v3, v19, 0xbf68dda4, v5
	v_fmac_f32_e32 v5, 0x3f68dda4, v19
	v_fmac_f32_e32 v20, 0x3f7d64f0, v19
	s_delay_alu instid0(VALU_DEP_4) | instskip(SKIP_1) | instid1(VALU_DEP_4)
	v_dual_add_f32 v50, v58, v50 :: v_dual_add_f32 v11, v11, v13
	v_fmamk_f32 v13, v19, 0x3e903f40, v21
	v_dual_add_f32 v57, v5, v2 :: v_dual_fmamk_f32 v2, v55, 0x3e903f40, v6
	v_fmac_f32_e32 v6, 0xbe903f40, v55
	v_dual_fmac_f32 v21, 0xbe903f40, v19 :: v_dual_add_f32 v56, v3, v18
	v_mul_f32_e32 v3, 0x3f575c64, v1
	v_add3_u32 v19, 0, v41, v100
	s_delay_alu instid0(VALU_DEP_4) | instskip(SKIP_1) | instid1(VALU_DEP_4)
	v_add_f32_e32 v60, v6, v0
	v_lshlrev_b32_e32 v0, 2, v96
	v_dual_add_f32 v54, v21, v8 :: v_dual_fmamk_f32 v5, v55, 0xbf0a6770, v3
	v_fmac_f32_e32 v3, 0x3f0a6770, v55
	v_dual_add_f32 v12, v20, v12 :: v_dual_add_nc_u32 v21, 0x600, v98
	s_delay_alu instid0(VALU_DEP_4)
	v_add3_u32 v18, 0, v0, v100
	v_fmamk_f32 v41, v55, 0xbf68dda4, v65
	v_dual_fmac_f32 v65, 0x3f68dda4, v55 :: v_dual_add_f32 v10, v22, v10
	v_add_nc_u32_e32 v20, 0x800, v98
	v_add_nc_u32_e32 v22, 0xa00, v98
	v_dual_add_f32 v52, v13, v9 :: v_dual_add_f32 v59, v2, v4
	v_dual_add_f32 v62, v5, v11 :: v_dual_add_f32 v63, v3, v12
	v_add_f32_e32 v64, v7, v10
	ds_load_b32 v48, v97
	ds_load_2addr_b32 v[12:13], v20 offset0:82 offset1:148
	ds_load_b32 v44, v18
	ds_load_2addr_b32 v[6:7], v22 offset0:86 offset1:152
	ds_load_2addr_b32 v[4:5], v23 offset0:70 offset1:136
	;; [unrolled: 1-line block ×6, first 2 shown]
	ds_load_b32 v49, v19
	ds_load_b32 v46, v98 offset:4488
	v_add_f32_e32 v41, v41, v52
	v_add_f32_e32 v52, v65, v54
	v_dual_add_f32 v54, v67, v56 :: v_dual_add_f32 v55, v66, v57
	global_wb scope:SCOPE_SE
	s_wait_dscnt 0x0
	s_barrier_signal -1
	s_barrier_wait -1
	global_inv scope:SCOPE_SE
	ds_store_2addr_b32 v105, v51, v59 offset1:6
	ds_store_2addr_b32 v105, v62, v64 offset0:12 offset1:18
	ds_store_2addr_b32 v105, v41, v54 offset0:24 offset1:30
	ds_store_2addr_b32 v105, v55, v52 offset0:36 offset1:42
	ds_store_2addr_b32 v105, v50, v63 offset0:48 offset1:54
	ds_store_b32 v105, v60 offset:240
	s_and_saveexec_b32 s1, s0
	s_cbranch_execz .LBB0_20
; %bb.19:
	v_dual_add_f32 v50, v53, v36 :: v_dual_sub_f32 v39, v39, v61
	v_add_f32_e32 v41, v45, v53
	v_sub_f32_e32 v35, v35, v38
	s_delay_alu instid0(VALU_DEP_3) | instskip(NEXT) | instid1(VALU_DEP_3)
	v_dual_sub_f32 v15, v15, v17 :: v_dual_mul_f32 v52, 0xbe11bafb, v50
	v_dual_add_f32 v51, v47, v37 :: v_dual_add_f32 v38, v41, v47
	v_mul_f32_e32 v47, 0x3ed4b147, v50
	v_sub_f32_e32 v31, v31, v33
	s_delay_alu instid0(VALU_DEP_4) | instskip(NEXT) | instid1(VALU_DEP_4)
	v_fmamk_f32 v59, v39, 0x3f7d64f0, v52
	v_mul_f32_e32 v54, 0x3ed4b147, v51
	v_dual_add_f32 v38, v38, v32 :: v_dual_mul_f32 v41, 0x3f575c64, v50
	v_fmamk_f32 v58, v39, 0x3f68dda4, v47
	v_add_f32_e32 v32, v32, v34
	s_delay_alu instid0(VALU_DEP_3) | instskip(NEXT) | instid1(VALU_DEP_2)
	v_dual_add_f32 v38, v38, v28 :: v_dual_mul_f32 v55, 0xbf27a4f4, v51
	v_dual_add_f32 v28, v28, v30 :: v_dual_mul_f32 v33, 0xbe11bafb, v32
	s_delay_alu instid0(VALU_DEP_2) | instskip(SKIP_1) | instid1(VALU_DEP_2)
	v_dual_sub_f32 v27, v27, v29 :: v_dual_add_f32 v38, v38, v14
	v_dual_mul_f32 v53, 0xbf27a4f4, v50 :: v_dual_add_f32 v14, v14, v16
	v_dual_add_f32 v38, v38, v16 :: v_dual_fmamk_f32 v57, v39, 0x3f0a6770, v41
	s_delay_alu instid0(VALU_DEP_2) | instskip(NEXT) | instid1(VALU_DEP_2)
	v_mul_f32_e32 v17, 0xbf75a155, v14
	v_dual_add_f32 v38, v38, v30 :: v_dual_fmac_f32 v47, 0xbf68dda4, v39
	s_delay_alu instid0(VALU_DEP_3) | instskip(SKIP_1) | instid1(VALU_DEP_3)
	v_dual_mul_f32 v50, 0xbf75a155, v50 :: v_dual_add_f32 v57, v45, v57
	v_mul_f32_e32 v30, 0xbf27a4f4, v32
	v_add_f32_e32 v38, v38, v34
	v_fmac_f32_e32 v52, 0xbf7d64f0, v39
	v_add_f32_e32 v47, v45, v47
	v_dual_fmac_f32 v41, 0xbf0a6770, v39 :: v_dual_add_f32 v58, v45, v58
	s_delay_alu instid0(VALU_DEP_3) | instskip(SKIP_1) | instid1(VALU_DEP_3)
	v_dual_add_f32 v37, v38, v37 :: v_dual_add_f32 v52, v45, v52
	v_dual_fmamk_f32 v60, v39, 0x3f4178ce, v53 :: v_dual_add_f32 v59, v45, v59
	v_dual_mul_f32 v56, 0xbf75a155, v51 :: v_dual_add_f32 v41, v45, v41
	s_delay_alu instid0(VALU_DEP_2)
	v_dual_fmac_f32 v53, 0xbf4178ce, v39 :: v_dual_add_f32 v60, v45, v60
	v_fmamk_f32 v61, v39, 0x3e903f40, v50
	v_fmac_f32_e32 v50, 0xbe903f40, v39
	v_dual_fmamk_f32 v39, v35, 0x3f68dda4, v54 :: v_dual_add_f32 v36, v37, v36
	v_fmac_f32_e32 v54, 0xbf68dda4, v35
	v_add_f32_e32 v38, v45, v53
	v_add_f32_e32 v53, v45, v61
	v_dual_add_f32 v45, v45, v50 :: v_dual_fmamk_f32 v62, v35, 0x3f4178ce, v55
	s_delay_alu instid0(VALU_DEP_4)
	v_add_f32_e32 v37, v54, v41
	v_fmamk_f32 v41, v35, 0xbe903f40, v56
	v_fmac_f32_e32 v56, 0x3e903f40, v35
	v_fmac_f32_e32 v55, 0xbf4178ce, v35
	v_mul_f32_e32 v54, 0xbe11bafb, v51
	v_mul_f32_e32 v51, 0x3f575c64, v51
	v_dual_add_f32 v39, v39, v57 :: v_dual_add_f32 v50, v62, v58
	s_delay_alu instid0(VALU_DEP_3) | instskip(SKIP_3) | instid1(VALU_DEP_4)
	v_dual_add_f32 v41, v41, v59 :: v_dual_fmamk_f32 v34, v35, 0xbf7d64f0, v54
	v_dual_add_f32 v52, v56, v52 :: v_dual_add_f32 v47, v55, v47
	v_fmac_f32_e32 v54, 0x3f7d64f0, v35
	v_fmamk_f32 v55, v35, 0xbf0a6770, v51
	v_dual_fmac_f32 v51, 0x3f0a6770, v35 :: v_dual_add_f32 v34, v34, v60
	s_delay_alu instid0(VALU_DEP_3) | instskip(NEXT) | instid1(VALU_DEP_3)
	v_dual_add_f32 v35, v54, v38 :: v_dual_mul_f32 v54, 0xbf75a155, v32
	v_add_f32_e32 v38, v55, v53
	v_fmamk_f32 v53, v31, 0x3f7d64f0, v33
	s_delay_alu instid0(VALU_DEP_4) | instskip(SKIP_1) | instid1(VALU_DEP_3)
	v_add_f32_e32 v45, v51, v45
	v_mul_f32_e32 v51, 0x3ed4b147, v32
	v_add_f32_e32 v39, v53, v39
	v_fmamk_f32 v53, v31, 0xbe903f40, v54
	v_fmac_f32_e32 v54, 0x3e903f40, v31
	s_delay_alu instid0(VALU_DEP_2) | instskip(NEXT) | instid1(VALU_DEP_1)
	v_dual_add_f32 v50, v53, v50 :: v_dual_mul_f32 v53, 0x3f575c64, v32
	v_dual_add_f32 v47, v54, v47 :: v_dual_fmamk_f32 v32, v31, 0x3f0a6770, v53
	s_delay_alu instid0(VALU_DEP_1) | instskip(SKIP_1) | instid1(VALU_DEP_2)
	v_dual_fmac_f32 v33, 0xbf7d64f0, v31 :: v_dual_add_f32 v32, v32, v34
	v_fmac_f32_e32 v53, 0xbf0a6770, v31
	v_add_f32_e32 v33, v33, v37
	s_delay_alu instid0(VALU_DEP_2) | instskip(SKIP_1) | instid1(VALU_DEP_2)
	v_dual_add_f32 v34, v53, v35 :: v_dual_fmamk_f32 v37, v31, 0xbf68dda4, v51
	v_fmac_f32_e32 v51, 0x3f68dda4, v31
	v_add_f32_e32 v37, v37, v41
	s_delay_alu instid0(VALU_DEP_2) | instskip(SKIP_1) | instid1(VALU_DEP_1)
	v_add_f32_e32 v41, v51, v52
	v_fmamk_f32 v51, v31, 0x3f4178ce, v30
	v_dual_fmac_f32 v30, 0xbf4178ce, v31 :: v_dual_add_f32 v35, v51, v38
	s_delay_alu instid0(VALU_DEP_1) | instskip(SKIP_1) | instid1(VALU_DEP_2)
	v_dual_add_f32 v30, v30, v45 :: v_dual_mul_f32 v29, 0xbf27a4f4, v28
	v_mul_f32_e32 v38, 0xbe11bafb, v28
	v_fmamk_f32 v31, v27, 0x3f4178ce, v29
	v_fmac_f32_e32 v29, 0xbf4178ce, v27
	s_delay_alu instid0(VALU_DEP_2) | instskip(SKIP_1) | instid1(VALU_DEP_3)
	v_add_f32_e32 v31, v31, v39
	v_mul_f32_e32 v39, 0x3f575c64, v28
	v_add_f32_e32 v29, v29, v33
	v_mul_f32_e32 v33, 0xbf75a155, v28
	v_mul_f32_e32 v28, 0x3ed4b147, v28
	v_fmamk_f32 v45, v27, 0xbf7d64f0, v38
	v_fmac_f32_e32 v38, 0x3f7d64f0, v27
	v_fmamk_f32 v51, v27, 0x3f0a6770, v39
	v_fmac_f32_e32 v39, 0xbf0a6770, v27
	s_delay_alu instid0(VALU_DEP_3) | instskip(SKIP_3) | instid1(VALU_DEP_3)
	v_dual_add_f32 v45, v45, v50 :: v_dual_add_f32 v38, v38, v47
	v_fmamk_f32 v47, v27, 0x3e903f40, v33
	v_fmac_f32_e32 v33, 0xbe903f40, v27
	v_add_f32_e32 v37, v51, v37
	v_add_f32_e32 v16, v47, v32
	v_fmamk_f32 v32, v27, 0xbf68dda4, v28
	v_fmac_f32_e32 v28, 0x3f68dda4, v27
	s_delay_alu instid0(VALU_DEP_2) | instskip(NEXT) | instid1(VALU_DEP_2)
	v_add_f32_e32 v32, v32, v35
	v_add_f32_e32 v28, v28, v30
	v_mul_f32_e32 v30, 0xbf27a4f4, v14
	v_add_f32_e32 v27, v33, v34
	v_mul_f32_e32 v33, 0x3f575c64, v14
	v_fmamk_f32 v34, v15, 0x3e903f40, v17
	v_fmac_f32_e32 v17, 0xbe903f40, v15
	v_add_f32_e32 v39, v39, v41
	s_delay_alu instid0(VALU_DEP_4) | instskip(NEXT) | instid1(VALU_DEP_4)
	v_fmamk_f32 v35, v15, 0xbf0a6770, v33
	v_add_f32_e32 v31, v34, v31
	v_fmac_f32_e32 v33, 0x3f0a6770, v15
	v_fmamk_f32 v34, v15, 0x3f4178ce, v30
	v_dual_fmac_f32 v30, 0xbf4178ce, v15 :: v_dual_add_f32 v17, v17, v29
	v_add_f32_e32 v29, v35, v45
	v_mul_f32_e32 v35, 0x3ed4b147, v14
	v_mul_f32_e32 v14, 0xbe11bafb, v14
	v_dual_add_f32 v33, v33, v38 :: v_dual_add_f32 v34, v34, v37
	v_mad_u32_u24 v38, 0x108, v103, 0
	s_delay_alu instid0(VALU_DEP_4) | instskip(NEXT) | instid1(VALU_DEP_4)
	v_fmamk_f32 v37, v15, 0xbf68dda4, v35
	v_fmamk_f32 v41, v15, 0x3f7d64f0, v14
	v_fmac_f32_e32 v14, 0xbf7d64f0, v15
	v_fmac_f32_e32 v35, 0x3f68dda4, v15
	s_delay_alu instid0(VALU_DEP_4) | instskip(SKIP_1) | instid1(VALU_DEP_3)
	v_add_f32_e32 v15, v37, v16
	v_add3_u32 v16, v38, v102, v100
	v_dual_add_f32 v32, v41, v32 :: v_dual_add_f32 v27, v35, v27
	v_add_f32_e32 v14, v14, v28
	v_add_f32_e32 v28, v30, v39
	ds_store_2addr_b32 v16, v36, v31 offset1:6
	ds_store_2addr_b32 v16, v29, v34 offset0:12 offset1:18
	ds_store_2addr_b32 v16, v15, v32 offset0:24 offset1:30
	ds_store_2addr_b32 v16, v14, v27 offset0:36 offset1:42
	ds_store_2addr_b32 v16, v28, v33 offset0:48 offset1:54
	ds_store_b32 v16, v17 offset:240
.LBB0_20:
	s_wait_alu 0xfffe
	s_or_b32 exec_lo, exec_lo, s1
	v_dual_mov_b32 v41, 0 :: v_dual_and_b32 v14, 0xff, v96
	v_and_b32_e32 v15, 0xffff, v89
	v_and_b32_e32 v16, 0xffff, v90
	;; [unrolled: 1-line block ×3, first 2 shown]
	s_delay_alu instid0(VALU_DEP_4)
	v_mul_lo_u16 v14, 0xf9, v14
	v_and_b32_e32 v28, 0xffff, v94
	v_mul_u32_u24_e32 v15, 0xf83f, v15
	v_mul_u32_u24_e32 v39, 0xf83f, v16
	global_wb scope:SCOPE_SE
	s_wait_dscnt 0x0
	v_lshrrev_b16 v14, 14, v14
	s_barrier_signal -1
	v_lshrrev_b32_e32 v15, 22, v15
	s_barrier_wait -1
	global_inv scope:SCOPE_SE
	v_mul_lo_u16 v14, 0x42, v14
	v_mul_u32_u24_e32 v32, 0xf83f, v27
	v_mul_lo_u16 v15, 0x42, v15
	v_mul_u32_u24_e32 v33, 0xf83f, v28
	s_delay_alu instid0(VALU_DEP_4) | instskip(NEXT) | instid1(VALU_DEP_3)
	v_sub_nc_u16 v16, v96, v14
	v_sub_nc_u16 v29, v89, v15
	v_lshlrev_b64_e32 v[14:15], 3, v[40:41]
	s_delay_alu instid0(VALU_DEP_1) | instskip(SKIP_1) | instid1(VALU_DEP_2)
	v_add_co_u32 v14, s0, s4, v14
	s_wait_alu 0xf1ff
	v_add_co_ci_u32_e64 v15, s0, s5, v15, s0
	global_load_b64 v[27:28], v[14:15], off offset:480
	v_and_b32_e32 v17, 0xffff, v91
	v_and_b32_e32 v68, 0xffff, v29
	;; [unrolled: 1-line block ×4, first 2 shown]
	v_lshrrev_b32_e32 v15, 22, v32
	v_mul_u32_u24_e32 v45, 0xf83f, v17
	v_lshrrev_b32_e32 v17, 22, v39
	v_mul_u32_u24_e32 v29, 0xf83f, v29
	v_lshlrev_b32_e32 v16, 3, v47
	v_mul_lo_u16 v15, 0x42, v15
	v_lshrrev_b32_e32 v30, 22, v45
	v_mul_lo_u16 v17, 0x42, v17
	v_lshrrev_b32_e32 v29, 22, v29
	v_lshrrev_b32_e32 v45, 23, v45
	;; [unrolled: 1-line block ×3, first 2 shown]
	v_mul_lo_u16 v14, 0x42, v30
	v_lshrrev_b32_e32 v30, 22, v33
	v_sub_nc_u16 v17, v90, v17
	v_mul_lo_u16 v78, 0x84, v45
	v_mul_lo_u16 v39, 0x84, v39
	v_sub_nc_u16 v14, v91, v14
	v_mul_lo_u16 v30, 0x42, v30
	v_and_b32_e32 v69, 0xffff, v17
	v_mul_lo_u16 v17, 0x42, v29
	s_delay_alu instid0(VALU_DEP_4)
	v_and_b32_e32 v70, 0xffff, v14
	v_sub_nc_u16 v14, v92, v15
	v_sub_nc_u16 v15, v94, v30
	global_load_b64 v[29:30], v16, s[4:5] offset:480
	v_lshlrev_b32_e32 v31, 3, v68
	v_sub_nc_u16 v17, v99, v17
	v_and_b32_e32 v72, 0xffff, v15
	global_load_b64 v[31:32], v31, s[4:5] offset:480
	v_lshlrev_b32_e32 v33, 3, v69
	global_load_b64 v[33:34], v33, s[4:5] offset:480
	v_lshlrev_b32_e32 v35, 3, v70
	global_load_b64 v[35:36], v35, s[4:5] offset:480
	v_and_b32_e32 v71, 0xffff, v14
	v_and_b32_e32 v73, 0xffff, v17
	v_lshlrev_b32_e32 v15, 3, v72
	s_delay_alu instid0(VALU_DEP_3) | instskip(NEXT) | instid1(VALU_DEP_3)
	v_dual_mov_b32 v17, v41 :: v_dual_lshlrev_b32 v14, 3, v71
	v_lshlrev_b32_e32 v16, 3, v73
	s_clause 0x2
	global_load_b64 v[37:38], v14, s[4:5] offset:480
	global_load_b64 v[50:51], v15, s[4:5] offset:480
	;; [unrolled: 1-line block ×3, first 2 shown]
	ds_load_b32 v74, v97
	ds_load_2addr_b32 v[54:55], v20 offset0:82 offset1:148
	ds_load_b32 v75, v18
	ds_load_2addr_b32 v[56:57], v22 offset0:86 offset1:152
	ds_load_2addr_b32 v[58:59], v23 offset0:70 offset1:136
	;; [unrolled: 1-line block ×6, first 2 shown]
	ds_load_b32 v76, v19
	ds_load_b32 v77, v98 offset:4488
	v_dual_mov_b32 v15, v41 :: v_dual_lshlrev_b32 v14, 1, v40
	global_wb scope:SCOPE_SE
	s_wait_loadcnt_dscnt 0x0
	s_barrier_signal -1
	s_barrier_wait -1
	global_inv scope:SCOPE_SE
	v_mul_f32_e32 v80, v55, v28
	s_delay_alu instid0(VALU_DEP_1)
	v_fmac_f32_e32 v80, v13, v27
	v_lshlrev_b32_e32 v45, 2, v47
	v_lshlrev_b32_e32 v47, 2, v68
	;; [unrolled: 1-line block ×5, first 2 shown]
	v_add3_u32 v45, 0, v45, v100
	v_add3_u32 v47, 0, v47, v100
	v_lshlrev_b32_e32 v71, 2, v72
	v_lshlrev_b32_e32 v72, 2, v73
	s_delay_alu instid0(VALU_DEP_4) | instskip(NEXT) | instid1(VALU_DEP_4)
	v_add_nc_u32_e32 v73, 0x400, v45
	v_add_nc_u32_e32 v79, 0x400, v47
	v_mul_f32_e32 v45, v54, v28
	v_mul_f32_e32 v47, v12, v28
	;; [unrolled: 1-line block ×3, first 2 shown]
	v_add3_u32 v72, 0, v72, v100
	s_delay_alu instid0(VALU_DEP_4) | instskip(NEXT) | instid1(VALU_DEP_4)
	v_fmac_f32_e32 v45, v12, v27
	v_fma_f32 v12, v54, v27, -v47
	s_delay_alu instid0(VALU_DEP_4) | instskip(NEXT) | instid1(VALU_DEP_3)
	v_fma_f32 v13, v55, v27, -v28
	v_sub_f32_e32 v28, v48, v45
	s_delay_alu instid0(VALU_DEP_3) | instskip(SKIP_1) | instid1(VALU_DEP_4)
	v_sub_f32_e32 v54, v74, v12
	v_dual_sub_f32 v12, v49, v80 :: v_dual_mul_f32 v47, v56, v30
	v_dual_mul_f32 v30, v6, v30 :: v_dual_sub_f32 v55, v76, v13
	s_delay_alu instid0(VALU_DEP_4) | instskip(NEXT) | instid1(VALU_DEP_4)
	v_fma_f32 v13, v48, 2.0, -v28
	v_fma_f32 v48, v74, 2.0, -v54
	s_delay_alu instid0(VALU_DEP_4)
	v_fma_f32 v45, v49, 2.0, -v12
	ds_store_2addr_b32 v98, v13, v28 offset1:66
	ds_store_2addr_b32 v98, v45, v12 offset0:132 offset1:198
	v_mul_f32_e32 v74, v60, v34
	v_fma_f32 v49, v76, 2.0, -v55
	v_mul_f32_e32 v34, v10, v34
	v_fmac_f32_e32 v47, v6, v29
	v_fma_f32 v6, v56, v29, -v30
	v_fmac_f32_e32 v74, v10, v33
	v_mul_f32_e32 v76, v61, v36
	v_mul_f32_e32 v36, v11, v36
	v_fma_f32 v10, v60, v33, -v34
	v_sub_f32_e32 v13, v44, v47
	v_add3_u32 v68, 0, v68, v100
	v_fmac_f32_e32 v76, v11, v35
	v_fma_f32 v11, v61, v35, -v36
	v_sub_f32_e32 v6, v75, v6
	v_sub_f32_e32 v29, v5, v74
	v_mul_f32_e32 v80, v64, v38
	v_mul_f32_e32 v38, v8, v38
	v_add3_u32 v71, 0, v71, v100
	v_mul_f32_e32 v82, v77, v53
	v_mul_f32_e32 v53, v46, v53
	v_add3_u32 v70, 0, v70, v100
	v_add3_u32 v69, 0, v69, v100
	v_dual_fmac_f32 v80, v8, v37 :: v_dual_add_nc_u32 v27, 0xc00, v71
	v_add_nc_u32_e32 v71, 0x1000, v72
	s_delay_alu instid0(VALU_DEP_4) | instskip(SKIP_4) | instid1(VALU_DEP_4)
	v_add_nc_u32_e32 v70, 0xc00, v70
	v_mul_f32_e32 v72, v57, v32
	v_dual_mul_f32 v32, v7, v32 :: v_dual_mul_f32 v81, v65, v51
	v_mul_f32_e32 v51, v9, v51
	v_lshlrev_b64_e32 v[14:15], 3, v[14:15]
	v_dual_fmac_f32 v72, v7, v31 :: v_dual_add_nc_u32 v69, 0x800, v69
	s_delay_alu instid0(VALU_DEP_4)
	v_fma_f32 v7, v57, v31, -v32
	v_dual_fmac_f32 v81, v9, v50 :: v_dual_lshlrev_b32 v16, 1, v101
	v_fmac_f32_e32 v82, v46, v52
	v_fma_f32 v8, v64, v37, -v38
	v_fma_f32 v9, v65, v50, -v51
	;; [unrolled: 1-line block ×3, first 2 shown]
	v_dual_sub_f32 v28, v4, v72 :: v_dual_sub_f32 v11, v62, v11
	v_add_nc_u32_e32 v68, 0x800, v68
	v_add_co_u32 v14, s0, s4, v14
	v_sub_f32_e32 v7, v58, v7
	v_dual_sub_f32 v30, v2, v76 :: v_dual_sub_f32 v33, v1, v82
	v_dual_sub_f32 v10, v59, v10 :: v_dual_sub_f32 v9, v66, v9
	;; [unrolled: 1-line block ×3, first 2 shown]
	s_wait_alu 0xf1ff
	v_add_co_ci_u32_e64 v15, s0, s5, v15, s0
	v_sub_f32_e32 v8, v63, v8
	v_sub_f32_e32 v50, v67, v12
	v_fma_f32 v12, v44, 2.0, -v13
	v_fma_f32 v4, v4, 2.0, -v28
	;; [unrolled: 1-line block ×13, first 2 shown]
	ds_store_2addr_b32 v73, v12, v13 offset0:8 offset1:74
	ds_store_2addr_b32 v79, v4, v28 offset0:140 offset1:206
	ds_store_2addr_b32 v68, v5, v29 offset0:16 offset1:82
	ds_store_2addr_b32 v69, v2, v30 offset0:148 offset1:214
	ds_store_2addr_b32 v70, v3, v31 offset0:24 offset1:90
	ds_store_2addr_b32 v27, v0, v32 offset0:156 offset1:222
	ds_store_2addr_b32 v71, v1, v33 offset0:32 offset1:98
	global_wb scope:SCOPE_SE
	s_wait_dscnt 0x0
	s_barrier_signal -1
	s_barrier_wait -1
	global_inv scope:SCOPE_SE
	v_add_nc_u32_e32 v67, 0x600, v19
	v_fma_f32 v57, v63, 2.0, -v8
	ds_load_b32 v62, v97
	ds_load_2addr_b32 v[12:13], v26 offset0:74 offset1:140
	ds_load_2addr_b32 v[31:32], v22 offset0:86 offset1:152
	;; [unrolled: 1-line block ×4, first 2 shown]
	ds_load_b32 v63, v18
	ds_load_2addr_b32 v[37:38], v23 offset0:70 offset1:136
	ds_load_2addr_b32 v[44:45], v20 offset0:82 offset1:148
	;; [unrolled: 1-line block ×3, first 2 shown]
	ds_load_b32 v64, v19
	ds_load_b32 v65, v98 offset:4488
	global_wb scope:SCOPE_SE
	s_wait_dscnt 0x0
	s_barrier_signal -1
	s_barrier_wait -1
	global_inv scope:SCOPE_SE
	ds_store_2addr_b32 v98, v48, v54 offset1:66
	ds_store_2addr_b32 v98, v49, v55 offset0:132 offset1:198
	ds_store_2addr_b32 v73, v51, v6 offset0:8 offset1:74
	;; [unrolled: 1-line block ×8, first 2 shown]
	global_wb scope:SCOPE_SE
	s_wait_dscnt 0x0
	s_barrier_signal -1
	s_barrier_wait -1
	global_inv scope:SCOPE_SE
	global_load_b128 v[0:3], v[14:15], off offset:1008
	v_lshlrev_b64_e32 v[16:17], 3, v[16:17]
	v_sub_nc_u16 v8, v90, v39
	v_sub_nc_u16 v9, v91, v78
	s_delay_alu instid0(VALU_DEP_3) | instskip(SKIP_1) | instid1(VALU_DEP_4)
	v_add_co_u32 v16, s0, s4, v16
	s_wait_alu 0xf1ff
	v_add_co_ci_u32_e64 v17, s0, s5, v17, s0
	global_load_b128 v[4:7], v[16:17], off offset:1008
	v_and_b32_e32 v39, 0xffff, v8
	v_and_b32_e32 v48, 0xffff, v9
	s_wait_loadcnt 0x1
	s_delay_alu instid0(VALU_DEP_2) | instskip(SKIP_1) | instid1(VALU_DEP_3)
	v_dual_mul_f32 v75, v13, v1 :: v_dual_lshlrev_b32 v8, 4, v39
	v_mul_f32_e32 v77, v32, v3
	v_lshlrev_b32_e32 v27, 4, v48
	s_clause 0x1
	global_load_b128 v[8:11], v8, s[4:5] offset:1008
	global_load_b128 v[27:30], v27, s[4:5] offset:1008
	v_lshlrev_b32_e32 v52, 2, v48
	ds_load_2addr_b32 v[48:49], v26 offset0:74 offset1:140
	ds_load_2addr_b32 v[50:51], v22 offset0:86 offset1:152
	;; [unrolled: 1-line block ×3, first 2 shown]
	s_wait_loadcnt 0x2
	v_mul_f32_e32 v79, v33, v5
	v_add3_u32 v66, 0, v52, v100
	ds_load_2addr_b32 v[52:53], v21 offset0:78 offset1:144
	ds_load_b32 v70, v97
	ds_load_b32 v71, v18
	ds_load_2addr_b32 v[56:57], v23 offset0:70 offset1:136
	ds_load_2addr_b32 v[58:59], v20 offset0:82 offset1:148
	;; [unrolled: 1-line block ×3, first 2 shown]
	ds_load_b32 v72, v19
	ds_load_b32 v73, v98 offset:4488
	v_mul_f32_e32 v81, v35, v7
	global_wb scope:SCOPE_SE
	s_wait_loadcnt_dscnt 0x0
	v_add_nc_u32_e32 v69, 0xc00, v66
	s_barrier_signal -1
	s_barrier_wait -1
	global_inv scope:SCOPE_SE
	v_dual_mul_f32 v74, v49, v1 :: v_dual_lshlrev_b32 v39, 2, v39
	v_mul_f32_e32 v76, v51, v3
	v_mul_f32_e32 v80, v54, v7
	;; [unrolled: 1-line block ×3, first 2 shown]
	v_dual_mul_f32 v3, v36, v3 :: v_dual_mul_f32 v84, v58, v5
	v_add3_u32 v39, 0, v39, v100
	v_mul_f32_e32 v78, v52, v5
	v_mul_f32_e32 v82, v53, v1
	;; [unrolled: 1-line block ×4, first 2 shown]
	v_dual_mul_f32 v5, v44, v5 :: v_dual_add_nc_u32 v68, 0xc00, v39
	v_dual_fmac_f32 v74, v13, v0 :: v_dual_fmac_f32 v83, v36, v2
	v_mul_f32_e32 v7, v46, v7
	v_fma_f32 v13, v49, v0, -v75
	v_fmac_f32_e32 v76, v32, v2
	v_fma_f32 v32, v51, v2, -v77
	v_fmac_f32_e32 v82, v34, v0
	v_fma_f32 v0, v53, v0, -v1
	v_fma_f32 v1, v55, v2, -v3
	;; [unrolled: 1-line block ×3, first 2 shown]
	s_delay_alu instid0(VALU_DEP_4)
	v_add_f32_e32 v36, v63, v82
	v_mul_f32_e32 v86, v59, v9
	v_dual_mul_f32 v9, v45, v9 :: v_dual_mul_f32 v100, v50, v28
	v_mul_f32_e32 v99, v61, v11
	v_mul_f32_e32 v101, v73, v30
	v_dual_mul_f32 v11, v47, v11 :: v_dual_mul_f32 v30, v65, v30
	v_dual_fmac_f32 v78, v33, v4 :: v_dual_fmac_f32 v85, v46, v6
	s_delay_alu instid0(VALU_DEP_3)
	v_dual_fmac_f32 v80, v35, v6 :: v_dual_fmac_f32 v101, v65, v29
	v_mul_f32_e32 v28, v31, v28
	v_dual_fmac_f32 v84, v44, v4 :: v_dual_fmac_f32 v99, v47, v10
	v_fmac_f32_e32 v86, v45, v8
	v_fmac_f32_e32 v100, v31, v27
	v_fma_f32 v33, v52, v4, -v79
	v_fma_f32 v4, v59, v8, -v9
	v_add_f32_e32 v9, v74, v76
	v_fma_f32 v5, v61, v10, -v11
	v_fma_f32 v35, v54, v6, -v81
	;; [unrolled: 1-line block ×4, first 2 shown]
	v_add_f32_e32 v29, v78, v80
	v_fma_f32 v6, v50, v27, -v28
	v_dual_sub_f32 v30, v33, v35 :: v_dual_add_f32 v11, v70, v13
	v_dual_add_f32 v44, v82, v83 :: v_dual_add_f32 v49, v37, v84
	v_dual_add_f32 v46, v71, v0 :: v_dual_sub_f32 v47, v82, v83
	v_dual_add_f32 v50, v84, v85 :: v_dual_add_f32 v55, v86, v99
	v_dual_sub_f32 v60, v86, v99 :: v_dual_add_f32 v65, v100, v101
	v_add_f32_e32 v8, v62, v74
	v_dual_sub_f32 v10, v13, v32 :: v_dual_add_f32 v31, v72, v33
	v_add_f32_e32 v13, v13, v32
	v_dual_sub_f32 v27, v74, v76 :: v_dual_add_f32 v28, v64, v78
	v_dual_add_f32 v52, v56, v2 :: v_dual_add_f32 v59, v57, v4
	v_dual_sub_f32 v58, v4, v5 :: v_dual_sub_f32 v73, v6, v7
	v_dual_add_f32 v4, v4, v5 :: v_dual_fmac_f32 v63, -0.5, v44
	s_delay_alu instid0(VALU_DEP_4)
	v_dual_fmac_f32 v62, -0.5, v9 :: v_dual_add_f32 v9, v28, v80
	v_dual_fmac_f32 v64, -0.5, v29 :: v_dual_add_f32 v33, v33, v35
	v_dual_sub_f32 v34, v78, v80 :: v_dual_sub_f32 v45, v0, v1
	v_dual_add_f32 v0, v0, v1 :: v_dual_sub_f32 v51, v2, v3
	v_dual_add_f32 v2, v2, v3 :: v_dual_sub_f32 v53, v84, v85
	v_dual_add_f32 v54, v38, v86 :: v_dual_add_f32 v61, v12, v100
	v_dual_add_f32 v74, v48, v6 :: v_dual_add_f32 v29, v46, v1
	v_dual_add_f32 v6, v6, v7 :: v_dual_sub_f32 v75, v100, v101
	v_fma_f32 v1, -0.5, v50, v37
	v_fmac_f32_e32 v38, -0.5, v55
	v_fmac_f32_e32 v12, -0.5, v65
	v_add_f32_e32 v8, v8, v76
	v_dual_fmac_f32 v70, -0.5, v13 :: v_dual_fmac_f32 v71, -0.5, v0
	v_dual_add_f32 v28, v31, v35 :: v_dual_fmac_f32 v57, -0.5, v4
	v_fmamk_f32 v4, v10, 0xbf5db3d7, v62
	v_dual_fmac_f32 v62, 0x3f5db3d7, v10 :: v_dual_add_f32 v31, v52, v3
	v_add_f32_e32 v35, v59, v5
	v_fmamk_f32 v5, v30, 0xbf5db3d7, v64
	v_fmac_f32_e32 v64, 0x3f5db3d7, v30
	v_dual_add_f32 v32, v11, v32 :: v_dual_add_f32 v11, v36, v83
	v_fmac_f32_e32 v72, -0.5, v33
	v_dual_add_f32 v0, v49, v85 :: v_dual_fmamk_f32 v37, v27, 0x3f5db3d7, v70
	v_fma_f32 v33, -0.5, v2, v56
	v_dual_add_f32 v2, v54, v99 :: v_dual_add_f32 v3, v61, v101
	v_add_f32_e32 v36, v74, v7
	v_fmac_f32_e32 v48, -0.5, v6
	v_fmamk_f32 v6, v45, 0xbf5db3d7, v63
	v_fmac_f32_e32 v63, 0x3f5db3d7, v45
	v_fmamk_f32 v7, v51, 0xbf5db3d7, v1
	v_fmac_f32_e32 v1, 0x3f5db3d7, v51
	v_fmamk_f32 v10, v58, 0xbf5db3d7, v38
	v_fmamk_f32 v13, v73, 0xbf5db3d7, v12
	v_fmac_f32_e32 v12, 0x3f5db3d7, v73
	v_fmac_f32_e32 v70, 0xbf5db3d7, v27
	v_dual_fmac_f32 v38, 0x3f5db3d7, v58 :: v_dual_fmamk_f32 v45, v60, 0x3f5db3d7, v57
	v_fmac_f32_e32 v57, 0xbf5db3d7, v60
	ds_store_2addr_b32 v98, v8, v4 offset1:132
	ds_store_b32 v98, v62 offset:1056
	ds_store_2addr_b32 v19, v9, v5 offset1:132
	ds_store_b32 v19, v64 offset:1056
	ds_store_2addr_b32 v21, v11, v6 offset0:12 offset1:144
	ds_store_b32 v98, v63 offset:2640
	ds_store_2addr_b32 v67, v0, v7 offset0:12 offset1:144
	;; [unrolled: 2-line block ×4, first 2 shown]
	ds_store_b32 v66, v12 offset:4224
	global_wb scope:SCOPE_SE
	s_wait_dscnt 0x0
	s_barrier_signal -1
	s_barrier_wait -1
	global_inv scope:SCOPE_SE
	ds_load_b32 v27, v97
	ds_load_2addr_b32 v[2:3], v26 offset0:74 offset1:140
	ds_load_2addr_b32 v[12:13], v22 offset0:86 offset1:152
	;; [unrolled: 1-line block ×4, first 2 shown]
	ds_load_b32 v22, v18
	ds_load_2addr_b32 v[0:1], v23 offset0:70 offset1:136
	ds_load_2addr_b32 v[8:9], v20 offset0:82 offset1:148
	;; [unrolled: 1-line block ×3, first 2 shown]
	ds_load_b32 v23, v19
	ds_load_b32 v20, v98 offset:4488
	v_fmamk_f32 v30, v34, 0x3f5db3d7, v72
	v_fmac_f32_e32 v72, 0xbf5db3d7, v34
	v_fmamk_f32 v34, v47, 0x3f5db3d7, v71
	v_fmac_f32_e32 v71, 0xbf5db3d7, v47
	v_fmamk_f32 v44, v53, 0x3f5db3d7, v33
	v_fmac_f32_e32 v33, 0xbf5db3d7, v53
	v_fmamk_f32 v46, v75, 0x3f5db3d7, v48
	v_fmac_f32_e32 v48, 0xbf5db3d7, v75
	global_wb scope:SCOPE_SE
	s_wait_dscnt 0x0
	s_barrier_signal -1
	s_barrier_wait -1
	global_inv scope:SCOPE_SE
	ds_store_2addr_b32 v98, v32, v37 offset1:132
	ds_store_b32 v98, v70 offset:1056
	ds_store_2addr_b32 v19, v28, v30 offset1:132
	ds_store_b32 v19, v72 offset:1056
	ds_store_2addr_b32 v21, v29, v34 offset0:12 offset1:144
	ds_store_b32 v98, v71 offset:2640
	ds_store_2addr_b32 v67, v31, v44 offset0:12 offset1:144
	;; [unrolled: 2-line block ×4, first 2 shown]
	ds_store_b32 v66, v48 offset:4224
	global_wb scope:SCOPE_SE
	s_wait_dscnt 0x0
	s_barrier_signal -1
	s_barrier_wait -1
	global_inv scope:SCOPE_SE
	s_and_saveexec_b32 s0, vcc_lo
	s_cbranch_execz .LBB0_22
; %bb.21:
	s_clause 0x1
	global_load_b128 v[28:31], v[16:17], off offset:3120
	global_load_b128 v[32:35], v[14:15], off offset:3120
	v_dual_mov_b32 v15, v41 :: v_dual_lshlrev_b32 v14, 1, v91
	v_dual_mov_b32 v17, v41 :: v_dual_lshlrev_b32 v16, 1, v90
	;; [unrolled: 1-line block ×3, first 2 shown]
	s_delay_alu instid0(VALU_DEP_3) | instskip(SKIP_1) | instid1(VALU_DEP_4)
	v_lshlrev_b64_e32 v[14:15], 3, v[14:15]
	v_dual_mov_b32 v37, v41 :: v_dual_lshlrev_b32 v36, 1, v96
	v_lshlrev_b64_e32 v[16:17], 3, v[16:17]
	s_delay_alu instid0(VALU_DEP_4)
	v_lshlrev_b64_e32 v[24:25], 3, v[24:25]
	v_mad_co_u64_u32 v[56:57], null, s8, v94, 0
	v_add_co_u32 v14, vcc_lo, s4, v14
	s_wait_alu 0xfffd
	v_add_co_ci_u32_e32 v15, vcc_lo, s5, v15, vcc_lo
	v_add_co_u32 v16, vcc_lo, s4, v16
	s_wait_alu 0xfffd
	v_add_co_ci_u32_e32 v17, vcc_lo, s5, v17, vcc_lo
	v_lshlrev_b64_e32 v[48:49], 3, v[36:37]
	global_load_b128 v[36:39], v[14:15], off offset:3120
	v_mul_hi_u32 v74, 0xa57eb503, v89
	global_load_b128 v[44:47], v[16:17], off offset:3120
	v_add_co_u32 v14, vcc_lo, s4, v24
	s_wait_alu 0xfffd
	v_add_co_ci_u32_e32 v15, vcc_lo, s5, v25, vcc_lo
	v_add_co_u32 v16, vcc_lo, s4, v48
	s_wait_alu 0xfffd
	v_add_co_ci_u32_e32 v17, vcc_lo, s5, v49, vcc_lo
	s_clause 0x1
	global_load_b128 v[48:51], v[14:15], off offset:3120
	global_load_b128 v[52:55], v[16:17], off offset:3120
	v_add_co_u32 v14, vcc_lo, s10, v42
	s_wait_alu 0xfffd
	v_add_co_ci_u32_e32 v15, vcc_lo, s11, v43, vcc_lo
	v_mad_co_u64_u32 v[24:25], null, s8, v93, 0
	v_mul_hi_u32 v43, 0xa57eb503, v88
	v_mad_co_u64_u32 v[41:42], null, s8, v87, 0
	v_add_nc_u32_e32 v21, 0xa00, v98
	ds_load_b32 v100, v18
	ds_load_b32 v101, v19
	ds_load_b32 v102, v98 offset:4488
	ds_load_b32 v103, v97
	v_mad_co_u64_u32 v[16:17], null, s8, v40, 0
	v_mad_co_u64_u32 v[18:19], null, s8, v92, 0
	;; [unrolled: 1-line block ×3, first 2 shown]
	v_mul_hi_u32 v75, 0xa57eb503, v90
	v_add_nc_u32_e32 v26, 0x400, v98
	v_mul_hi_u32 v76, 0xa57eb503, v91
	v_add_nc_u32_e32 v64, 0x200, v98
	v_add_nc_u32_e32 v66, 0x800, v98
	;; [unrolled: 1-line block ×5, first 2 shown]
	ds_load_2addr_b32 v[60:61], v21 offset0:86 offset1:152
	ds_load_2addr_b32 v[62:63], v26 offset0:74 offset1:140
	;; [unrolled: 1-line block ×7, first 2 shown]
	v_mov_b32_e32 v21, v25
	v_lshrrev_b32_e32 v43, 8, v43
	v_dual_mov_b32 v25, v42 :: v_dual_mov_b32 v26, v57
	v_lshrrev_b32_e32 v57, 8, v74
	v_mov_b32_e32 v42, v59
	v_lshrrev_b32_e32 v59, 8, v75
	v_mad_co_u64_u32 v[74:75], null, s9, v40, v[17:18]
	v_lshrrev_b32_e32 v81, 8, v76
	v_mad_co_u64_u32 v[75:76], null, s9, v92, v[19:20]
	v_mad_co_u64_u32 v[76:77], null, s9, v93, v[21:22]
	v_mad_u32_u24 v92, 0x318, v43, v88
	v_mad_co_u64_u32 v[77:78], null, s9, v87, v[25:26]
	v_mad_co_u64_u32 v[78:79], null, s9, v94, v[26:27]
	s_delay_alu instid0(VALU_DEP_3)
	v_add_nc_u32_e32 v97, 0x318, v92
	v_mad_u32_u24 v94, 0x318, v57, v89
	v_mad_co_u64_u32 v[79:80], null, s9, v95, v[42:43]
	v_mad_u32_u24 v95, 0x318, v59, v90
	v_mad_u32_u24 v104, 0x318, v81, v91
	v_mad_co_u64_u32 v[80:81], null, s8, v92, 0
	v_mad_co_u64_u32 v[82:83], null, s8, v94, 0
	v_dual_mov_b32 v59, v79 :: v_dual_add_nc_u32 v96, 0x18c, v92
	v_add_nc_u32_e32 v98, 0x18c, v94
	v_dual_mov_b32 v42, v77 :: v_dual_add_nc_u32 v99, 0x318, v94
	v_mad_co_u64_u32 v[84:85], null, s8, v95, 0
	v_dual_mov_b32 v26, v83 :: v_dual_add_nc_u32 v105, 0x18c, v95
	v_mov_b32_e32 v25, v76
	v_mad_co_u64_u32 v[76:77], null, s8, v97, 0
	v_mov_b32_e32 v17, v74
	v_mov_b32_e32 v19, v75
	;; [unrolled: 1-line block ×3, first 2 shown]
	v_mad_co_u64_u32 v[74:75], null, s8, v96, 0
	v_mov_b32_e32 v21, v81
	v_mad_co_u64_u32 v[78:79], null, s8, v98, 0
	v_mad_co_u64_u32 v[88:89], null, s8, v105, 0
	v_lshlrev_b64_e32 v[40:41], 3, v[41:42]
	v_lshlrev_b64_e32 v[42:43], 3, v[56:57]
	;; [unrolled: 1-line block ×3, first 2 shown]
	v_dual_mov_b32 v58, v85 :: v_dual_mov_b32 v59, v77
	v_mad_co_u64_u32 v[92:93], null, s9, v92, v[21:22]
	v_mad_co_u64_u32 v[86:87], null, s8, v99, 0
	v_mad_co_u64_u32 v[93:94], null, s9, v94, v[26:27]
	v_dual_mov_b32 v21, v75 :: v_dual_add_nc_u32 v106, 0x318, v95
	v_mov_b32_e32 v26, v79
	v_mad_co_u64_u32 v[94:95], null, s9, v95, v[58:59]
	v_dual_mov_b32 v75, v87 :: v_dual_mov_b32 v58, v89
	v_mov_b32_e32 v81, v92
	v_mad_co_u64_u32 v[95:96], null, s9, v96, v[21:22]
	s_wait_dscnt 0x6
	v_mad_co_u64_u32 v[96:97], null, s9, v97, v[59:60]
	v_mad_co_u64_u32 v[97:98], null, s9, v98, v[26:27]
	v_mov_b32_e32 v83, v93
	v_mad_co_u64_u32 v[98:99], null, s9, v99, v[75:76]
	v_lshlrev_b64_e32 v[16:17], 3, v[16:17]
	v_lshlrev_b64_e32 v[18:19], 3, v[18:19]
	v_mad_co_u64_u32 v[90:91], null, s8, v106, 0
	v_lshlrev_b64_e32 v[24:25], 3, v[24:25]
	v_lshlrev_b64_e32 v[80:81], 3, v[80:81]
	v_add_co_u32 v16, vcc_lo, v14, v16
	s_wait_alu 0xfffd
	v_add_co_ci_u32_e32 v17, vcc_lo, v15, v17, vcc_lo
	v_add_co_u32 v18, vcc_lo, v14, v18
	s_wait_alu 0xfffd
	v_add_co_ci_u32_e32 v19, vcc_lo, v15, v19, vcc_lo
	;; [unrolled: 3-line block ×7, first 2 shown]
	s_wait_loadcnt 0x5
	v_mul_f32_e32 v26, v6, v31
	s_wait_loadcnt 0x4
	v_mul_f32_e32 v89, v13, v35
	v_mul_f32_e32 v35, v61, v35
	s_wait_dscnt 0x0
	v_mul_f32_e32 v31, v72, v31
	v_mul_f32_e32 v59, v3, v33
	v_fma_f32 v26, v72, v30, -v26
	v_lshlrev_b64_e32 v[82:83], 3, v[82:83]
	v_fmac_f32_e32 v35, v13, v34
	v_mul_f32_e32 v21, v4, v29
	s_delay_alu instid0(VALU_DEP_3) | instskip(NEXT) | instid1(VALU_DEP_2)
	v_add_co_u32 v82, vcc_lo, v14, v82
	v_fma_f32 v21, v70, v28, -v21
	v_mov_b32_e32 v75, v95
	s_wait_alu 0xfffd
	v_add_co_ci_u32_e32 v83, vcc_lo, v15, v83, vcc_lo
	s_wait_loadcnt 0x1
	v_mul_f32_e32 v72, v8, v49
	s_wait_loadcnt 0x0
	v_dual_mul_f32 v92, v5, v53 :: v_dual_fmac_f32 v31, v6, v30
	v_mul_f32_e32 v29, v70, v29
	v_fma_f32 v6, v61, v34, -v89
	v_dual_sub_f32 v34, v21, v26 :: v_dual_mul_f32 v33, v63, v33
	v_mul_f32_e32 v49, v66, v49
	s_delay_alu instid0(VALU_DEP_4) | instskip(SKIP_3) | instid1(VALU_DEP_4)
	v_fmac_f32_e32 v29, v4, v28
	v_fma_f32 v4, v63, v32, -v59
	v_mov_b32_e32 v77, v96
	v_mov_b32_e32 v79, v97
	v_dual_mul_f32 v89, v10, v51 :: v_dual_add_f32 v28, v23, v29
	s_delay_alu instid0(VALU_DEP_4) | instskip(SKIP_4) | instid1(VALU_DEP_4)
	v_sub_f32_e32 v63, v4, v6
	v_dual_fmac_f32 v33, v3, v32 :: v_dual_add_f32 v30, v4, v6
	v_mul_f32_e32 v51, v68, v51
	v_fmac_f32_e32 v49, v8, v48
	v_fma_f32 v8, v71, v52, -v92
	v_add_f32_e32 v61, v33, v35
	v_dual_mov_b32 v85, v94 :: v_dual_sub_f32 v32, v29, v31
	v_dual_mov_b32 v87, v98 :: v_dual_add_f32 v70, v103, v4
	v_add_f32_e32 v13, v29, v31
	v_add_f32_e32 v28, v28, v31
	v_fma_f32 v31, -0.5, v30, v103
	v_fma_f32 v30, -0.5, v61, v27
	v_mul_f32_e32 v61, v9, v45
	v_fmac_f32_e32 v51, v10, v50
	v_mul_f32_e32 v45, v67, v45
	v_sub_f32_e32 v59, v33, v35
	v_mul_f32_e32 v93, v7, v55
	v_lshlrev_b64_e32 v[74:75], 3, v[74:75]
	v_lshlrev_b64_e32 v[76:77], 3, v[76:77]
	v_fmac_f32_e32 v45, v9, v44
	v_add_f32_e32 v33, v27, v33
	v_fma_f32 v9, v66, v48, -v72
	v_dual_add_f32 v27, v70, v6 :: v_dual_mul_f32 v6, v12, v36
	v_mul_f32_e32 v70, v11, v47
	v_mul_f32_e32 v47, v69, v47
	v_lshlrev_b64_e32 v[78:79], 3, v[78:79]
	v_add_co_u32 v74, vcc_lo, v14, v74
	v_dual_fmac_f32 v6, v60, v37 :: v_dual_add_f32 v3, v21, v26
	s_delay_alu instid0(VALU_DEP_4)
	v_fmac_f32_e32 v47, v11, v46
	v_mul_f32_e32 v53, v71, v53
	v_fma_f32 v11, v68, v50, -v89
	s_wait_alu 0xfffd
	v_add_co_ci_u32_e32 v75, vcc_lo, v15, v75, vcc_lo
	v_fma_f32 v4, -0.5, v3, v101
	v_fma_f32 v3, -0.5, v13, v23
	v_mul_f32_e32 v23, v20, v38
	v_fmac_f32_e32 v53, v5, v52
	s_delay_alu instid0(VALU_DEP_4) | instskip(NEXT) | instid1(VALU_DEP_3)
	v_dual_add_f32 v10, v45, v47 :: v_dual_fmamk_f32 v13, v32, 0xbf5db3d7, v4
	v_dual_fmac_f32 v4, 0x3f5db3d7, v32 :: v_dual_fmac_f32 v23, v102, v39
	v_add_f32_e32 v21, v101, v21
	v_fma_f32 v32, v73, v54, -v93
	v_lshlrev_b64_e32 v[86:87], 3, v[86:87]
	v_add_co_u32 v76, vcc_lo, v14, v76
	s_delay_alu instid0(VALU_DEP_4)
	v_add_f32_e32 v29, v21, v26
	v_add_f32_e32 v26, v33, v35
	v_mul_f32_e32 v35, v20, v39
	v_fmamk_f32 v21, v59, 0xbf5db3d7, v31
	v_dual_fmamk_f32 v20, v63, 0x3f5db3d7, v30 :: v_dual_fmac_f32 v31, 0x3f5db3d7, v59
	global_store_b64 v[16:17], v[26:27], off
	v_fma_f32 v26, v67, v44, -v61
	v_dual_mul_f32 v33, v12, v37 :: v_dual_fmamk_f32 v12, v34, 0x3f5db3d7, v3
	v_fmac_f32_e32 v30, 0xbf5db3d7, v63
	v_fma_f32 v17, v102, v38, -v35
	v_fma_f32 v27, v69, v46, -v70
	s_delay_alu instid0(VALU_DEP_4)
	v_fma_f32 v16, v60, v36, -v33
	v_dual_add_f32 v36, v22, v53 :: v_dual_fmac_f32 v3, 0xbf5db3d7, v34
	v_dual_sub_f32 v34, v8, v32 :: v_dual_mul_f32 v55, v73, v55
	s_clause 0x4
	global_store_b64 v[18:19], v[30:31], off
	global_store_b64 v[24:25], v[20:21], off
	;; [unrolled: 1-line block ×5, first 2 shown]
	v_dual_sub_f32 v20, v6, v23 :: v_dual_add_f32 v3, v16, v17
	v_dual_add_f32 v4, v6, v23 :: v_dual_fmac_f32 v55, v7, v54
	v_sub_f32_e32 v21, v16, v17
	v_add_f32_e32 v5, v16, v62
	v_add_f32_e32 v6, v2, v6
	;; [unrolled: 1-line block ×4, first 2 shown]
	v_dual_sub_f32 v25, v26, v27 :: v_dual_add_f32 v12, v65, v26
	v_add_f32_e32 v13, v1, v45
	v_sub_f32_e32 v26, v49, v51
	v_dual_add_f32 v30, v8, v32 :: v_dual_add_f32 v33, v53, v55
	v_fma_f32 v2, -0.5, v4, v2
	v_add_f32_e32 v4, v6, v23
	v_fma_f32 v6, -0.5, v10, v1
	v_fma_f32 v1, -0.5, v16, v64
	v_dual_add_f32 v18, v49, v51 :: v_dual_add_f32 v35, v100, v8
	v_dual_sub_f32 v28, v9, v11 :: v_dual_add_f32 v19, v64, v9
	v_sub_f32_e32 v31, v53, v55
	v_fma_f32 v3, -0.5, v3, v62
	v_fma_f32 v7, -0.5, v7, v65
	v_add_f32_e32 v9, v12, v27
	v_fma_f32 v12, -0.5, v33, v22
	v_fmamk_f32 v23, v26, 0xbf5db3d7, v1
	v_fmac_f32_e32 v1, 0x3f5db3d7, v26
	v_add_nc_u32_e32 v26, 0x18c, v104
	v_sub_f32_e32 v24, v45, v47
	v_add_f32_e32 v8, v13, v47
	v_fma_f32 v13, -0.5, v30, v100
	v_add_f32_e32 v29, v0, v49
	s_wait_alu 0xfffd
	v_add_co_ci_u32_e32 v77, vcc_lo, v15, v77, vcc_lo
	v_fma_f32 v0, -0.5, v18, v0
	v_add_co_u32 v78, vcc_lo, v14, v78
	v_add_f32_e32 v5, v17, v5
	v_dual_add_f32 v17, v35, v32 :: v_dual_add_f32 v16, v36, v55
	v_add_f32_e32 v11, v19, v11
	v_fmamk_f32 v19, v20, 0x3f5db3d7, v3
	v_dual_fmamk_f32 v18, v21, 0xbf5db3d7, v2 :: v_dual_fmac_f32 v3, 0xbf5db3d7, v20
	v_fmac_f32_e32 v2, 0x3f5db3d7, v21
	v_fmamk_f32 v21, v24, 0xbf5db3d7, v7
	v_dual_fmamk_f32 v20, v25, 0x3f5db3d7, v6 :: v_dual_fmac_f32 v7, 0x3f5db3d7, v24
	v_dual_fmac_f32 v6, 0xbf5db3d7, v25 :: v_dual_fmamk_f32 v25, v31, 0xbf5db3d7, v13
	v_fmamk_f32 v24, v34, 0x3f5db3d7, v12
	v_fmac_f32_e32 v12, 0xbf5db3d7, v34
	v_fmac_f32_e32 v13, 0x3f5db3d7, v31
	s_wait_alu 0xfffd
	v_add_co_ci_u32_e32 v79, vcc_lo, v15, v79, vcc_lo
	v_add_co_u32 v86, vcc_lo, v14, v86
	v_add_f32_e32 v10, v29, v51
	v_fmamk_f32 v22, v28, 0x3f5db3d7, v0
	v_fmac_f32_e32 v0, 0xbf5db3d7, v28
	v_lshlrev_b64_e32 v[84:85], 3, v[84:85]
	s_wait_alu 0xfffd
	v_add_co_ci_u32_e32 v87, vcc_lo, v15, v87, vcc_lo
	s_clause 0x5
	global_store_b64 v[80:81], v[16:17], off
	global_store_b64 v[74:75], v[12:13], off
	global_store_b64 v[76:77], v[24:25], off
	global_store_b64 v[82:83], v[10:11], off
	global_store_b64 v[78:79], v[0:1], off
	global_store_b64 v[86:87], v[22:23], off
	v_mad_co_u64_u32 v[16:17], null, s9, v105, v[58:59]
	v_add_co_u32 v10, vcc_lo, v14, v84
	v_mov_b32_e32 v12, v91
	v_mad_co_u64_u32 v[22:23], null, s8, v26, 0
	v_add_nc_u32_e32 v27, 0x318, v104
	v_mad_co_u64_u32 v[0:1], null, s8, v104, 0
	s_wait_alu 0xfffd
	v_add_co_ci_u32_e32 v11, vcc_lo, v15, v85, vcc_lo
	v_mov_b32_e32 v89, v16
	v_mad_co_u64_u32 v[12:13], null, s9, v106, v[12:13]
	v_mad_co_u64_u32 v[16:17], null, s8, v27, 0
	global_store_b64 v[10:11], v[8:9], off
	v_lshlrev_b64_e32 v[9:10], 3, v[88:89]
	v_mov_b32_e32 v8, v23
	v_mad_co_u64_u32 v[24:25], null, s9, v104, v[1:2]
	v_mov_b32_e32 v91, v12
	s_delay_alu instid0(VALU_DEP_3)
	v_mad_co_u64_u32 v[11:12], null, s9, v26, v[8:9]
	v_mov_b32_e32 v8, v17
	v_add_co_u32 v9, vcc_lo, v14, v9
	v_mov_b32_e32 v1, v24
	v_lshlrev_b64_e32 v[12:13], 3, v[90:91]
	s_wait_alu 0xfffd
	v_add_co_ci_u32_e32 v10, vcc_lo, v15, v10, vcc_lo
	v_mad_co_u64_u32 v[24:25], null, s9, v27, v[8:9]
	v_mov_b32_e32 v23, v11
	v_lshlrev_b64_e32 v[0:1], 3, v[0:1]
	v_add_co_u32 v11, vcc_lo, v14, v12
	s_wait_alu 0xfffd
	v_add_co_ci_u32_e32 v12, vcc_lo, v15, v13, vcc_lo
	v_mov_b32_e32 v17, v24
	v_lshlrev_b64_e32 v[22:23], 3, v[22:23]
	v_add_co_u32 v0, vcc_lo, v14, v0
	s_wait_alu 0xfffd
	v_add_co_ci_u32_e32 v1, vcc_lo, v15, v1, vcc_lo
	v_lshlrev_b64_e32 v[16:17], 3, v[16:17]
	s_delay_alu instid0(VALU_DEP_4) | instskip(SKIP_2) | instid1(VALU_DEP_3)
	v_add_co_u32 v22, vcc_lo, v14, v22
	s_wait_alu 0xfffd
	v_add_co_ci_u32_e32 v23, vcc_lo, v15, v23, vcc_lo
	v_add_co_u32 v13, vcc_lo, v14, v16
	s_wait_alu 0xfffd
	v_add_co_ci_u32_e32 v14, vcc_lo, v15, v17, vcc_lo
	s_clause 0x4
	global_store_b64 v[9:10], v[6:7], off
	global_store_b64 v[11:12], v[20:21], off
	;; [unrolled: 1-line block ×5, first 2 shown]
.LBB0_22:
	s_nop 0
	s_sendmsg sendmsg(MSG_DEALLOC_VGPRS)
	s_endpgm
	.section	.rodata,"a",@progbits
	.p2align	6, 0x0
	.amdhsa_kernel fft_rtc_back_len1188_factors_6_11_2_3_3_wgs_198_tpt_66_halfLds_sp_ip_CI_sbrr_dirReg
		.amdhsa_group_segment_fixed_size 0
		.amdhsa_private_segment_fixed_size 0
		.amdhsa_kernarg_size 88
		.amdhsa_user_sgpr_count 2
		.amdhsa_user_sgpr_dispatch_ptr 0
		.amdhsa_user_sgpr_queue_ptr 0
		.amdhsa_user_sgpr_kernarg_segment_ptr 1
		.amdhsa_user_sgpr_dispatch_id 0
		.amdhsa_user_sgpr_private_segment_size 0
		.amdhsa_wavefront_size32 1
		.amdhsa_uses_dynamic_stack 0
		.amdhsa_enable_private_segment 0
		.amdhsa_system_sgpr_workgroup_id_x 1
		.amdhsa_system_sgpr_workgroup_id_y 0
		.amdhsa_system_sgpr_workgroup_id_z 0
		.amdhsa_system_sgpr_workgroup_info 0
		.amdhsa_system_vgpr_workitem_id 0
		.amdhsa_next_free_vgpr 127
		.amdhsa_next_free_sgpr 35
		.amdhsa_reserve_vcc 1
		.amdhsa_float_round_mode_32 0
		.amdhsa_float_round_mode_16_64 0
		.amdhsa_float_denorm_mode_32 3
		.amdhsa_float_denorm_mode_16_64 3
		.amdhsa_fp16_overflow 0
		.amdhsa_workgroup_processor_mode 1
		.amdhsa_memory_ordered 1
		.amdhsa_forward_progress 0
		.amdhsa_round_robin_scheduling 0
		.amdhsa_exception_fp_ieee_invalid_op 0
		.amdhsa_exception_fp_denorm_src 0
		.amdhsa_exception_fp_ieee_div_zero 0
		.amdhsa_exception_fp_ieee_overflow 0
		.amdhsa_exception_fp_ieee_underflow 0
		.amdhsa_exception_fp_ieee_inexact 0
		.amdhsa_exception_int_div_zero 0
	.end_amdhsa_kernel
	.text
.Lfunc_end0:
	.size	fft_rtc_back_len1188_factors_6_11_2_3_3_wgs_198_tpt_66_halfLds_sp_ip_CI_sbrr_dirReg, .Lfunc_end0-fft_rtc_back_len1188_factors_6_11_2_3_3_wgs_198_tpt_66_halfLds_sp_ip_CI_sbrr_dirReg
                                        ; -- End function
	.section	.AMDGPU.csdata,"",@progbits
; Kernel info:
; codeLenInByte = 14752
; NumSgprs: 37
; NumVgprs: 127
; ScratchSize: 0
; MemoryBound: 0
; FloatMode: 240
; IeeeMode: 1
; LDSByteSize: 0 bytes/workgroup (compile time only)
; SGPRBlocks: 4
; VGPRBlocks: 15
; NumSGPRsForWavesPerEU: 37
; NumVGPRsForWavesPerEU: 127
; Occupancy: 10
; WaveLimiterHint : 1
; COMPUTE_PGM_RSRC2:SCRATCH_EN: 0
; COMPUTE_PGM_RSRC2:USER_SGPR: 2
; COMPUTE_PGM_RSRC2:TRAP_HANDLER: 0
; COMPUTE_PGM_RSRC2:TGID_X_EN: 1
; COMPUTE_PGM_RSRC2:TGID_Y_EN: 0
; COMPUTE_PGM_RSRC2:TGID_Z_EN: 0
; COMPUTE_PGM_RSRC2:TIDIG_COMP_CNT: 0
	.text
	.p2alignl 7, 3214868480
	.fill 96, 4, 3214868480
	.type	__hip_cuid_6c751d1308ee9b52,@object ; @__hip_cuid_6c751d1308ee9b52
	.section	.bss,"aw",@nobits
	.globl	__hip_cuid_6c751d1308ee9b52
__hip_cuid_6c751d1308ee9b52:
	.byte	0                               ; 0x0
	.size	__hip_cuid_6c751d1308ee9b52, 1

	.ident	"AMD clang version 19.0.0git (https://github.com/RadeonOpenCompute/llvm-project roc-6.4.0 25133 c7fe45cf4b819c5991fe208aaa96edf142730f1d)"
	.section	".note.GNU-stack","",@progbits
	.addrsig
	.addrsig_sym __hip_cuid_6c751d1308ee9b52
	.amdgpu_metadata
---
amdhsa.kernels:
  - .args:
      - .actual_access:  read_only
        .address_space:  global
        .offset:         0
        .size:           8
        .value_kind:     global_buffer
      - .offset:         8
        .size:           8
        .value_kind:     by_value
      - .actual_access:  read_only
        .address_space:  global
        .offset:         16
        .size:           8
        .value_kind:     global_buffer
      - .actual_access:  read_only
        .address_space:  global
        .offset:         24
        .size:           8
        .value_kind:     global_buffer
      - .offset:         32
        .size:           8
        .value_kind:     by_value
      - .actual_access:  read_only
        .address_space:  global
        .offset:         40
        .size:           8
        .value_kind:     global_buffer
      - .actual_access:  read_only
        .address_space:  global
        .offset:         48
        .size:           8
        .value_kind:     global_buffer
      - .offset:         56
        .size:           4
        .value_kind:     by_value
      - .actual_access:  read_only
        .address_space:  global
        .offset:         64
        .size:           8
        .value_kind:     global_buffer
      - .actual_access:  read_only
        .address_space:  global
        .offset:         72
        .size:           8
        .value_kind:     global_buffer
      - .address_space:  global
        .offset:         80
        .size:           8
        .value_kind:     global_buffer
    .group_segment_fixed_size: 0
    .kernarg_segment_align: 8
    .kernarg_segment_size: 88
    .language:       OpenCL C
    .language_version:
      - 2
      - 0
    .max_flat_workgroup_size: 198
    .name:           fft_rtc_back_len1188_factors_6_11_2_3_3_wgs_198_tpt_66_halfLds_sp_ip_CI_sbrr_dirReg
    .private_segment_fixed_size: 0
    .sgpr_count:     37
    .sgpr_spill_count: 0
    .symbol:         fft_rtc_back_len1188_factors_6_11_2_3_3_wgs_198_tpt_66_halfLds_sp_ip_CI_sbrr_dirReg.kd
    .uniform_work_group_size: 1
    .uses_dynamic_stack: false
    .vgpr_count:     127
    .vgpr_spill_count: 0
    .wavefront_size: 32
    .workgroup_processor_mode: 1
amdhsa.target:   amdgcn-amd-amdhsa--gfx1201
amdhsa.version:
  - 1
  - 2
...

	.end_amdgpu_metadata
